;; amdgpu-corpus repo=ROCm/rocFFT kind=compiled arch=gfx906 opt=O3
	.text
	.amdgcn_target "amdgcn-amd-amdhsa--gfx906"
	.amdhsa_code_object_version 6
	.protected	fft_rtc_fwd_len289_factors_17_17_wgs_119_tpt_17_half_op_CI_CI_sbcc_twdbase6_3step ; -- Begin function fft_rtc_fwd_len289_factors_17_17_wgs_119_tpt_17_half_op_CI_CI_sbcc_twdbase6_3step
	.globl	fft_rtc_fwd_len289_factors_17_17_wgs_119_tpt_17_half_op_CI_CI_sbcc_twdbase6_3step
	.p2align	8
	.type	fft_rtc_fwd_len289_factors_17_17_wgs_119_tpt_17_half_op_CI_CI_sbcc_twdbase6_3step,@function
fft_rtc_fwd_len289_factors_17_17_wgs_119_tpt_17_half_op_CI_CI_sbcc_twdbase6_3step: ; @fft_rtc_fwd_len289_factors_17_17_wgs_119_tpt_17_half_op_CI_CI_sbcc_twdbase6_3step
; %bb.0:
	s_load_dwordx2 s[28:29], s[4:5], 0x0
	s_load_dwordx8 s[8:15], s[4:5], 0x8
	s_load_dwordx4 s[20:23], s[4:5], 0x60
	s_load_dwordx2 s[30:31], s[4:5], 0x28
	s_movk_i32 s0, 0xc0
	v_cmp_gt_u32_e32 vcc, s0, v0
	s_and_saveexec_b64 s[2:3], vcc
	s_cbranch_execz .LBB0_3
; %bb.1:
	v_add_co_u32_e32 v1, vcc, 0xffffff89, v0
	v_lshlrev_b32_e32 v5, 2, v0
	v_addc_co_u32_e64 v2, s[0:1], 0, -1, vcc
	s_waitcnt lgkmcnt(0)
	v_mov_b32_e32 v4, s9
	v_add_co_u32_e32 v3, vcc, s8, v5
	v_add_u32_e32 v5, 0, v5
	v_addc_co_u32_e32 v4, vcc, 0, v4, vcc
	v_add_u32_e32 v5, 0x1f9c, v5
	s_mov_b64 s[4:5], 0x48
	s_mov_b64 s[8:9], 0
.LBB0_2:                                ; =>This Inner Loop Header: Depth=1
	global_load_dword v6, v[3:4], off
	v_add_co_u32_e32 v1, vcc, 0x77, v1
	v_addc_co_u32_e32 v2, vcc, 0, v2, vcc
	v_cmp_lt_u64_e64 s[0:1], s[4:5], v[1:2]
	v_add_co_u32_e32 v3, vcc, 0x1dc, v3
	v_addc_co_u32_e32 v4, vcc, 0, v4, vcc
	s_or_b64 s[8:9], s[0:1], s[8:9]
	s_waitcnt vmcnt(0)
	ds_write_b32 v5, v6
	v_add_u32_e32 v5, 0x1dc, v5
	s_andn2_b64 exec, exec, s[8:9]
	s_cbranch_execnz .LBB0_2
.LBB0_3:
	s_or_b64 exec, exec, s[2:3]
	s_waitcnt lgkmcnt(0)
	s_load_dwordx2 s[8:9], s[12:13], 0x8
	s_mov_b32 s7, 0
	s_waitcnt lgkmcnt(0)
	s_add_u32 s0, s8, -1
	s_addc_u32 s1, s9, -1
	s_add_u32 s2, 0, 0x92481000
	s_addc_u32 s3, 0, 0x64
	s_mul_hi_u32 s5, s2, -7
	s_add_i32 s3, s3, 0x249248c0
	s_sub_i32 s5, s5, s2
	s_mul_i32 s18, s3, -7
	s_mul_i32 s4, s2, -7
	s_add_i32 s5, s5, s18
	s_mul_hi_u32 s16, s3, s4
	s_mul_i32 s17, s3, s4
	s_mul_i32 s19, s2, s5
	s_mul_hi_u32 s4, s2, s4
	s_mul_hi_u32 s18, s2, s5
	s_add_u32 s4, s4, s19
	s_addc_u32 s18, 0, s18
	s_add_u32 s4, s4, s17
	s_mul_hi_u32 s19, s3, s5
	s_addc_u32 s4, s18, s16
	s_addc_u32 s16, s19, 0
	s_mul_i32 s5, s3, s5
	s_add_u32 s4, s4, s5
	v_mov_b32_e32 v1, s4
	s_addc_u32 s5, 0, s16
	v_add_co_u32_e32 v1, vcc, s2, v1
	s_cmp_lg_u64 vcc, 0
	s_addc_u32 s2, s3, s5
	v_readfirstlane_b32 s5, v1
	s_mul_i32 s4, s0, s2
	s_mul_hi_u32 s16, s0, s5
	s_mul_hi_u32 s3, s0, s2
	s_add_u32 s4, s16, s4
	s_addc_u32 s3, 0, s3
	s_mul_hi_u32 s17, s1, s5
	s_mul_i32 s5, s1, s5
	s_add_u32 s4, s4, s5
	s_mul_hi_u32 s16, s1, s2
	s_addc_u32 s3, s3, s17
	s_addc_u32 s4, s16, 0
	s_mul_i32 s2, s1, s2
	s_add_u32 s2, s3, s2
	s_addc_u32 s3, 0, s4
	s_add_u32 s4, s2, 1
	s_addc_u32 s5, s3, 0
	s_add_u32 s16, s2, 2
	s_mul_i32 s18, s3, 7
	s_mul_hi_u32 s19, s2, 7
	s_addc_u32 s17, s3, 0
	s_add_i32 s19, s19, s18
	s_mul_i32 s18, s2, 7
	v_mov_b32_e32 v1, s18
	v_sub_co_u32_e32 v1, vcc, s0, v1
	s_cmp_lg_u64 vcc, 0
	s_subb_u32 s0, s1, s19
	v_subrev_co_u32_e32 v2, vcc, 7, v1
	s_cmp_lg_u64 vcc, 0
	s_subb_u32 s1, s0, 0
	v_readfirstlane_b32 s18, v2
	s_cmp_gt_u32 s18, 6
	s_cselect_b32 s18, -1, 0
	s_cmp_eq_u32 s1, 0
	s_cselect_b32 s1, s18, -1
	s_cmp_lg_u32 s1, 0
	s_cselect_b32 s1, s16, s4
	s_cselect_b32 s4, s17, s5
	v_readfirstlane_b32 s5, v1
	s_cmp_gt_u32 s5, 6
	s_cselect_b32 s5, -1, 0
	s_cmp_eq_u32 s0, 0
	s_cselect_b32 s0, s5, -1
	s_cmp_lg_u32 s0, 0
	s_cselect_b32 s1, s1, s2
	s_cselect_b32 s0, s4, s3
	s_add_u32 s36, s1, 1
	s_addc_u32 s37, s0, 0
	v_mov_b32_e32 v1, s36
	v_mov_b32_e32 v2, s37
	v_cmp_lt_u64_e32 vcc, s[6:7], v[1:2]
	s_mov_b64 s[4:5], 0
	s_cbranch_vccnz .LBB0_5
; %bb.4:
	v_cvt_f32_u32_e32 v1, s36
	s_sub_i32 s0, 0, s36
	s_mov_b32 s5, s7
	v_rcp_iflag_f32_e32 v1, v1
	v_mul_f32_e32 v1, 0x4f7ffffe, v1
	v_cvt_u32_f32_e32 v1, v1
	v_readfirstlane_b32 s1, v1
	s_mul_i32 s0, s0, s1
	s_mul_hi_u32 s0, s1, s0
	s_add_i32 s1, s1, s0
	s_mul_hi_u32 s0, s6, s1
	s_mul_i32 s2, s0, s36
	s_sub_i32 s2, s6, s2
	s_add_i32 s1, s0, 1
	s_sub_i32 s3, s2, s36
	s_cmp_ge_u32 s2, s36
	s_cselect_b32 s0, s1, s0
	s_cselect_b32 s2, s3, s2
	s_add_i32 s1, s0, 1
	s_cmp_ge_u32 s2, s36
	s_cselect_b32 s4, s1, s0
.LBB0_5:
	s_mul_i32 s0, s4, s37
	s_mul_hi_u32 s1, s4, s36
	s_add_i32 s1, s1, s0
	s_mul_i32 s0, s4, s36
	s_load_dwordx4 s[24:27], s[14:15], 0x0
	s_load_dwordx4 s[16:19], s[30:31], 0x0
	s_sub_u32 s50, s6, s0
	s_subb_u32 s0, 0, s1
	s_mul_i32 s0, s0, 7
	s_mul_hi_u32 s33, s50, 7
	s_add_i32 s33, s33, s0
	s_mul_i32 s50, s50, 7
	s_waitcnt lgkmcnt(0)
	s_mul_i32 s0, s26, s33
	s_mul_hi_u32 s1, s26, s50
	s_add_i32 s0, s1, s0
	s_mul_i32 s1, s27, s50
	s_add_i32 s35, s0, s1
	s_mul_i32 s0, s18, s33
	s_mul_hi_u32 s1, s18, s50
	s_add_i32 s0, s1, s0
	s_mul_i32 s1, s19, s50
	s_add_i32 s3, s0, s1
	v_cmp_lt_u64_e64 s[0:1], s[10:11], 3
	s_mul_i32 s34, s26, s50
	s_mul_i32 s2, s18, s50
	s_and_b64 vcc, exec, s[0:1]
	s_cbranch_vccnz .LBB0_15
; %bb.6:
	s_add_u32 s38, s30, 16
	s_addc_u32 s39, s31, 0
	s_add_u32 s40, s14, 16
	s_addc_u32 s41, s15, 0
	s_add_u32 s12, s12, 16
	v_mov_b32_e32 v1, s10
	s_addc_u32 s13, s13, 0
	s_mov_b64 s[42:43], 2
	s_mov_b32 s44, 0
	v_mov_b32_e32 v2, s11
.LBB0_7:                                ; =>This Inner Loop Header: Depth=1
	s_load_dwordx2 s[46:47], s[12:13], 0x0
	s_waitcnt lgkmcnt(0)
	s_or_b64 s[0:1], s[4:5], s[46:47]
	s_mov_b32 s45, s1
	s_cmp_lg_u64 s[44:45], 0
	s_cbranch_scc0 .LBB0_12
; %bb.8:                                ;   in Loop: Header=BB0_7 Depth=1
	v_cvt_f32_u32_e32 v3, s46
	v_cvt_f32_u32_e32 v4, s47
	s_sub_u32 s0, 0, s46
	s_subb_u32 s1, 0, s47
	v_mac_f32_e32 v3, 0x4f800000, v4
	v_rcp_f32_e32 v3, v3
	v_mul_f32_e32 v3, 0x5f7ffffc, v3
	v_mul_f32_e32 v4, 0x2f800000, v3
	v_trunc_f32_e32 v4, v4
	v_mac_f32_e32 v3, 0xcf800000, v4
	v_cvt_u32_f32_e32 v4, v4
	v_cvt_u32_f32_e32 v3, v3
	v_readfirstlane_b32 s45, v4
	v_readfirstlane_b32 s48, v3
	s_mul_i32 s49, s0, s45
	s_mul_hi_u32 s52, s0, s48
	s_mul_i32 s51, s1, s48
	s_add_i32 s49, s52, s49
	s_mul_i32 s53, s0, s48
	s_add_i32 s49, s49, s51
	s_mul_hi_u32 s51, s48, s49
	s_mul_i32 s52, s48, s49
	s_mul_hi_u32 s48, s48, s53
	s_add_u32 s48, s48, s52
	s_addc_u32 s51, 0, s51
	s_mul_hi_u32 s54, s45, s53
	s_mul_i32 s53, s45, s53
	s_add_u32 s48, s48, s53
	s_mul_hi_u32 s52, s45, s49
	s_addc_u32 s48, s51, s54
	s_addc_u32 s51, s52, 0
	s_mul_i32 s49, s45, s49
	s_add_u32 s48, s48, s49
	s_addc_u32 s49, 0, s51
	v_add_co_u32_e32 v3, vcc, s48, v3
	s_cmp_lg_u64 vcc, 0
	s_addc_u32 s45, s45, s49
	v_readfirstlane_b32 s49, v3
	s_mul_i32 s48, s0, s45
	s_mul_hi_u32 s51, s0, s49
	s_add_i32 s48, s51, s48
	s_mul_i32 s1, s1, s49
	s_add_i32 s48, s48, s1
	s_mul_i32 s0, s0, s49
	s_mul_hi_u32 s51, s45, s0
	s_mul_i32 s52, s45, s0
	s_mul_i32 s54, s49, s48
	s_mul_hi_u32 s0, s49, s0
	s_mul_hi_u32 s53, s49, s48
	s_add_u32 s0, s0, s54
	s_addc_u32 s49, 0, s53
	s_add_u32 s0, s0, s52
	s_mul_hi_u32 s1, s45, s48
	s_addc_u32 s0, s49, s51
	s_addc_u32 s1, s1, 0
	s_mul_i32 s48, s45, s48
	s_add_u32 s0, s0, s48
	s_addc_u32 s1, 0, s1
	v_add_co_u32_e32 v3, vcc, s0, v3
	s_cmp_lg_u64 vcc, 0
	s_addc_u32 s0, s45, s1
	v_readfirstlane_b32 s48, v3
	s_mul_i32 s45, s4, s0
	s_mul_hi_u32 s49, s4, s48
	s_mul_hi_u32 s1, s4, s0
	s_add_u32 s45, s49, s45
	s_addc_u32 s1, 0, s1
	s_mul_hi_u32 s51, s5, s48
	s_mul_i32 s48, s5, s48
	s_add_u32 s45, s45, s48
	s_mul_hi_u32 s49, s5, s0
	s_addc_u32 s1, s1, s51
	s_addc_u32 s45, s49, 0
	s_mul_i32 s0, s5, s0
	s_add_u32 s48, s1, s0
	s_addc_u32 s45, 0, s45
	s_mul_i32 s0, s46, s45
	s_mul_hi_u32 s1, s46, s48
	s_add_i32 s0, s1, s0
	s_mul_i32 s1, s47, s48
	s_add_i32 s49, s0, s1
	s_mul_i32 s1, s46, s48
	v_mov_b32_e32 v3, s1
	s_sub_i32 s0, s5, s49
	v_sub_co_u32_e32 v3, vcc, s4, v3
	s_cmp_lg_u64 vcc, 0
	s_subb_u32 s51, s0, s47
	v_subrev_co_u32_e64 v4, s[0:1], s46, v3
	s_cmp_lg_u64 s[0:1], 0
	s_subb_u32 s0, s51, 0
	s_cmp_ge_u32 s0, s47
	v_readfirstlane_b32 s51, v4
	s_cselect_b32 s1, -1, 0
	s_cmp_ge_u32 s51, s46
	s_cselect_b32 s51, -1, 0
	s_cmp_eq_u32 s0, s47
	s_cselect_b32 s0, s51, s1
	s_add_u32 s1, s48, 1
	s_addc_u32 s51, s45, 0
	s_add_u32 s52, s48, 2
	s_addc_u32 s53, s45, 0
	s_cmp_lg_u32 s0, 0
	s_cselect_b32 s0, s52, s1
	s_cselect_b32 s1, s53, s51
	s_cmp_lg_u64 vcc, 0
	s_subb_u32 s49, s5, s49
	s_cmp_ge_u32 s49, s47
	v_readfirstlane_b32 s52, v3
	s_cselect_b32 s51, -1, 0
	s_cmp_ge_u32 s52, s46
	s_cselect_b32 s52, -1, 0
	s_cmp_eq_u32 s49, s47
	s_cselect_b32 s49, s52, s51
	s_cmp_lg_u32 s49, 0
	s_cselect_b32 s1, s1, s45
	s_cselect_b32 s0, s0, s48
	s_cbranch_execnz .LBB0_10
.LBB0_9:                                ;   in Loop: Header=BB0_7 Depth=1
	v_cvt_f32_u32_e32 v3, s46
	s_sub_i32 s0, 0, s46
	v_rcp_iflag_f32_e32 v3, v3
	v_mul_f32_e32 v3, 0x4f7ffffe, v3
	v_cvt_u32_f32_e32 v3, v3
	v_readfirstlane_b32 s1, v3
	s_mul_i32 s0, s0, s1
	s_mul_hi_u32 s0, s1, s0
	s_add_i32 s1, s1, s0
	s_mul_hi_u32 s0, s4, s1
	s_mul_i32 s45, s0, s46
	s_sub_i32 s45, s4, s45
	s_add_i32 s1, s0, 1
	s_sub_i32 s48, s45, s46
	s_cmp_ge_u32 s45, s46
	s_cselect_b32 s0, s1, s0
	s_cselect_b32 s45, s48, s45
	s_add_i32 s1, s0, 1
	s_cmp_ge_u32 s45, s46
	s_cselect_b32 s0, s1, s0
	s_mov_b32 s1, s44
.LBB0_10:                               ;   in Loop: Header=BB0_7 Depth=1
	s_mul_i32 s37, s46, s37
	s_mul_hi_u32 s45, s46, s36
	s_add_i32 s37, s45, s37
	s_mul_i32 s45, s47, s36
	s_add_i32 s37, s37, s45
	s_mul_i32 s45, s0, s47
	s_mul_hi_u32 s47, s0, s46
	s_load_dwordx2 s[48:49], s[40:41], 0x0
	s_add_i32 s45, s47, s45
	s_mul_i32 s47, s1, s46
	s_mul_i32 s36, s46, s36
	s_add_i32 s45, s45, s47
	s_mul_i32 s46, s0, s46
	s_sub_u32 s46, s4, s46
	s_subb_u32 s45, s5, s45
	s_waitcnt lgkmcnt(0)
	s_mul_i32 s4, s48, s45
	s_mul_hi_u32 s5, s48, s46
	s_add_i32 s47, s5, s4
	s_load_dwordx2 s[4:5], s[38:39], 0x0
	s_mul_i32 s49, s49, s46
	s_add_i32 s47, s47, s49
	s_mul_i32 s48, s48, s46
	s_add_u32 s34, s48, s34
	s_addc_u32 s35, s47, s35
	s_waitcnt lgkmcnt(0)
	s_mul_i32 s45, s4, s45
	s_mul_hi_u32 s47, s4, s46
	s_add_i32 s45, s47, s45
	s_mul_i32 s5, s5, s46
	s_add_i32 s45, s45, s5
	s_mul_i32 s4, s4, s46
	s_add_u32 s2, s4, s2
	s_addc_u32 s3, s45, s3
	s_add_u32 s42, s42, 1
	s_addc_u32 s43, s43, 0
	;; [unrolled: 2-line block ×4, first 2 shown]
	v_cmp_ge_u64_e32 vcc, s[42:43], v[1:2]
	s_add_u32 s12, s12, 8
	s_addc_u32 s13, s13, 0
	s_cbranch_vccnz .LBB0_13
; %bb.11:                               ;   in Loop: Header=BB0_7 Depth=1
	s_mov_b64 s[4:5], s[0:1]
	s_branch .LBB0_7
.LBB0_12:                               ;   in Loop: Header=BB0_7 Depth=1
                                        ; implicit-def: $sgpr0_sgpr1
	s_branch .LBB0_9
.LBB0_13:
	v_mov_b32_e32 v1, s36
	v_mov_b32_e32 v2, s37
	v_cmp_lt_u64_e32 vcc, s[6:7], v[1:2]
	s_mov_b64 s[4:5], 0
	s_cbranch_vccnz .LBB0_15
; %bb.14:
	v_cvt_f32_u32_e32 v1, s36
	s_sub_i32 s0, 0, s36
	v_rcp_iflag_f32_e32 v1, v1
	v_mul_f32_e32 v1, 0x4f7ffffe, v1
	v_cvt_u32_f32_e32 v1, v1
	v_readfirstlane_b32 s1, v1
	s_mul_i32 s0, s0, s1
	s_mul_hi_u32 s0, s1, s0
	s_add_i32 s1, s1, s0
	s_mul_hi_u32 s0, s6, s1
	s_mul_i32 s4, s0, s36
	s_sub_i32 s4, s6, s4
	s_add_i32 s1, s0, 1
	s_sub_i32 s5, s4, s36
	s_cmp_ge_u32 s4, s36
	s_cselect_b32 s0, s1, s0
	s_cselect_b32 s4, s5, s4
	s_add_i32 s1, s0, 1
	s_cmp_ge_u32 s4, s36
	s_cselect_b32 s4, s1, s0
.LBB0_15:
	s_lshl_b64 s[10:11], s[10:11], 3
	s_mov_b32 s1, 0x24924925
	s_add_u32 s6, s30, s10
	v_mul_hi_u32 v14, v0, s1
	s_addc_u32 s7, s31, s11
	s_add_u32 s0, s50, 7
	v_mov_b32_e32 v1, s8
	s_addc_u32 s1, s33, 0
	v_mov_b32_e32 v2, s9
	v_cmp_le_u64_e32 vcc, s[0:1], v[1:2]
	v_mul_u32_u24_e32 v1, 7, v14
	v_sub_u32_e32 v18, v0, v1
	v_mov_b32_e32 v2, s33
	v_add_co_u32_e64 v1, s[0:1], s50, v18
	v_addc_co_u32_e64 v2, s[0:1], 0, v2, s[0:1]
	v_cmp_gt_u64_e64 s[0:1], s[8:9], v[1:2]
	v_mov_b32_e32 v1, 0
	s_or_b64 s[0:1], vcc, s[0:1]
	v_lshlrev_b32_e32 v19, 2, v14
	v_add_u32_e32 v17, 17, v14
	v_add_u32_e32 v16, 34, v14
	v_add_u32_e32 v15, 51, v14
	s_and_saveexec_b64 s[8:9], s[0:1]
	s_cbranch_execz .LBB0_17
; %bb.16:
	s_add_u32 s10, s14, s10
	s_addc_u32 s11, s15, s11
	s_load_dwordx2 s[10:11], s[10:11], 0x0
	v_mad_u64_u32 v[2:3], s[12:13], s26, v18, 0
	v_mad_u64_u32 v[4:5], s[12:13], s24, v14, 0
	s_waitcnt lgkmcnt(0)
	s_mul_i32 s5, s11, s4
	s_mul_hi_u32 s11, s10, s4
	s_add_i32 s11, s11, s5
	s_mul_i32 s10, s10, s4
	v_mad_u64_u32 v[6:7], s[12:13], s27, v18, v[3:4]
	v_mov_b32_e32 v3, v5
	s_lshl_b64 s[10:11], s[10:11], 2
	v_mad_u64_u32 v[7:8], s[12:13], s25, v14, v[3:4]
	s_add_u32 s5, s20, s10
	s_addc_u32 s12, s21, s11
	s_lshl_b64 s[10:11], s[34:35], 2
	s_add_u32 s5, s5, s10
	s_addc_u32 s10, s12, s11
	v_mov_b32_e32 v3, v6
	v_mov_b32_e32 v5, v7
	;; [unrolled: 1-line block ×3, first 2 shown]
	v_mad_u64_u32 v[6:7], s[10:11], s24, v17, 0
	v_lshlrev_b64 v[2:3], 2, v[2:3]
	v_mad_u64_u32 v[10:11], s[10:11], s24, v15, 0
	v_add_co_u32_e32 v42, vcc, s5, v2
	v_addc_co_u32_e32 v43, vcc, v8, v3, vcc
	v_lshlrev_b64 v[2:3], 2, v[4:5]
	v_mov_b32_e32 v4, v7
	v_mad_u64_u32 v[4:5], s[10:11], s25, v17, v[4:5]
	v_mad_u64_u32 v[8:9], s[10:11], s24, v16, 0
	v_mov_b32_e32 v7, v4
	v_lshlrev_b64 v[4:5], 2, v[6:7]
	v_mov_b32_e32 v6, v9
	v_mad_u64_u32 v[6:7], s[10:11], s25, v16, v[6:7]
	v_add_u32_e32 v20, 0x44, v14
	v_mad_u64_u32 v[12:13], s[10:11], s24, v20, 0
	v_mov_b32_e32 v9, v6
	v_lshlrev_b64 v[6:7], 2, v[8:9]
	v_mov_b32_e32 v8, v11
	v_mad_u64_u32 v[8:9], s[10:11], s25, v15, v[8:9]
	v_add_u32_e32 v22, 0x55, v14
	v_add_u32_e32 v24, 0x66, v14
	v_mov_b32_e32 v11, v8
	v_lshlrev_b64 v[8:9], 2, v[10:11]
	v_mov_b32_e32 v10, v13
	v_mad_u64_u32 v[10:11], s[10:11], s25, v20, v[10:11]
	v_mad_u64_u32 v[20:21], s[10:11], s24, v22, 0
	v_mov_b32_e32 v13, v10
	v_lshlrev_b64 v[10:11], 2, v[12:13]
	v_mov_b32_e32 v12, v21
	v_mad_u64_u32 v[12:13], s[10:11], s25, v22, v[12:13]
	v_mad_u64_u32 v[22:23], s[10:11], s24, v24, 0
	v_mov_b32_e32 v21, v12
	v_lshlrev_b64 v[12:13], 2, v[20:21]
	v_mov_b32_e32 v20, v23
	v_mad_u64_u32 v[20:21], s[10:11], s25, v24, v[20:21]
	v_add_u32_e32 v26, 0x77, v14
	v_mad_u64_u32 v[24:25], s[10:11], s24, v26, 0
	v_mov_b32_e32 v23, v20
	v_lshlrev_b64 v[20:21], 2, v[22:23]
	v_mov_b32_e32 v22, v25
	v_mad_u64_u32 v[22:23], s[10:11], s25, v26, v[22:23]
	v_add_u32_e32 v28, 0x88, v14
	;; [unrolled: 6-line block ×6, first 2 shown]
	v_mad_u64_u32 v[34:35], s[10:11], s24, v36, 0
	v_add_co_u32_e32 v2, vcc, v42, v2
	v_mov_b32_e32 v33, v30
	v_addc_co_u32_e32 v3, vcc, v43, v3, vcc
	v_lshlrev_b64 v[30:31], 2, v[32:33]
	v_mov_b32_e32 v32, v35
	v_add_co_u32_e32 v4, vcc, v42, v4
	v_mad_u64_u32 v[32:33], s[10:11], s25, v36, v[32:33]
	v_add_u32_e32 v38, 0xdd, v14
	v_addc_co_u32_e32 v5, vcc, v43, v5, vcc
	v_mad_u64_u32 v[36:37], s[10:11], s24, v38, 0
	v_add_co_u32_e32 v6, vcc, v42, v6
	v_addc_co_u32_e32 v7, vcc, v43, v7, vcc
	v_add_co_u32_e32 v8, vcc, v42, v8
	v_mov_b32_e32 v35, v32
	v_addc_co_u32_e32 v9, vcc, v43, v9, vcc
	v_lshlrev_b64 v[32:33], 2, v[34:35]
	v_mov_b32_e32 v34, v37
	v_add_co_u32_e32 v10, vcc, v42, v10
	v_mad_u64_u32 v[34:35], s[10:11], s25, v38, v[34:35]
	v_add_u32_e32 v40, 0xee, v14
	v_addc_co_u32_e32 v11, vcc, v43, v11, vcc
	v_mad_u64_u32 v[38:39], s[10:11], s24, v40, 0
	v_add_co_u32_e32 v12, vcc, v42, v12
	v_addc_co_u32_e32 v13, vcc, v43, v13, vcc
	;; [unrolled: 12-line block ×3, first 2 shown]
	v_add_co_u32_e32 v26, vcc, v42, v26
	v_mov_b32_e32 v39, v36
	v_addc_co_u32_e32 v27, vcc, v43, v27, vcc
	v_lshlrev_b64 v[36:37], 2, v[38:39]
	v_mov_b32_e32 v38, v41
	v_add_co_u32_e32 v28, vcc, v42, v28
	v_mad_u64_u32 v[38:39], s[10:11], s25, v44, v[38:39]
	v_addc_co_u32_e32 v29, vcc, v43, v29, vcc
	v_add_co_u32_e32 v30, vcc, v42, v30
	v_addc_co_u32_e32 v31, vcc, v43, v31, vcc
	v_add_co_u32_e32 v32, vcc, v42, v32
	v_mov_b32_e32 v41, v38
	v_add_u32_e32 v44, 0x110, v14
	v_addc_co_u32_e32 v33, vcc, v43, v33, vcc
	v_lshlrev_b64 v[38:39], 2, v[40:41]
	v_mad_u64_u32 v[40:41], s[10:11], s24, v44, 0
	v_add_co_u32_e32 v34, vcc, v42, v34
	v_addc_co_u32_e32 v35, vcc, v43, v35, vcc
	v_add_co_u32_e32 v36, vcc, v42, v36
	v_addc_co_u32_e32 v37, vcc, v43, v37, vcc
	global_load_dword v45, v[2:3], off
	global_load_dword v46, v[4:5], off
	;; [unrolled: 1-line block ×8, first 2 shown]
	v_mov_b32_e32 v2, v41
	v_add_co_u32_e32 v38, vcc, v42, v38
	v_mad_u64_u32 v[2:3], s[10:11], s25, v44, v[2:3]
	v_addc_co_u32_e32 v39, vcc, v43, v39, vcc
	global_load_dword v4, v[24:25], off
	global_load_dword v5, v[26:27], off
	;; [unrolled: 1-line block ×8, first 2 shown]
	v_mov_b32_e32 v41, v2
	v_lshlrev_b64 v[2:3], 2, v[40:41]
	s_movk_i32 s5, 0x484
	v_add_co_u32_e32 v2, vcc, v42, v2
	v_addc_co_u32_e32 v3, vcc, v43, v3, vcc
	global_load_dword v2, v[2:3], off
	v_mul_lo_u32 v3, v18, s5
	v_add3_u32 v3, 0, v3, v19
	s_waitcnt vmcnt(15)
	ds_write2_b32 v3, v45, v46 offset1:17
	s_waitcnt vmcnt(13)
	ds_write2_b32 v3, v47, v48 offset0:34 offset1:51
	s_waitcnt vmcnt(11)
	ds_write2_b32 v3, v49, v50 offset0:68 offset1:85
	;; [unrolled: 2-line block ×7, first 2 shown]
	s_waitcnt vmcnt(0)
	ds_write_b32 v3, v2 offset:1088
.LBB0_17:
	s_or_b64 exec, exec, s[8:9]
	s_mov_b32 s5, 0xf0f0f10
	v_mul_hi_u32 v6, v0, s5
	s_add_u32 s5, 0, 0x92481000
	s_addc_u32 s8, 0, 0x64
	s_add_i32 s8, s8, 0x249248c0
	s_mul_hi_u32 s12, s5, -7
	s_sub_i32 s12, s12, s5
	s_mul_i32 s13, s8, -7
	s_mul_i32 s9, s5, -7
	s_add_i32 s12, s12, s13
	s_mul_hi_u32 s10, s8, s9
	s_mul_i32 s11, s8, s9
	s_mul_i32 s14, s5, s12
	s_mul_hi_u32 s9, s5, s9
	s_mul_hi_u32 s13, s5, s12
	s_add_u32 s9, s9, s14
	s_addc_u32 s13, 0, s13
	s_add_u32 s9, s9, s11
	s_mul_hi_u32 s14, s8, s12
	s_addc_u32 s9, s13, s10
	s_addc_u32 s10, s14, 0
	s_mul_i32 s11, s8, s12
	v_mov_b32_e32 v2, s33
	v_add_co_u32_e32 v21, vcc, s50, v6
	s_add_u32 s9, s9, s11
	v_addc_co_u32_e32 v7, vcc, 0, v2, vcc
	v_mov_b32_e32 v2, s9
	s_addc_u32 s10, 0, s10
	v_add_co_u32_e32 v4, vcc, s5, v2
	s_cmp_lg_u64 vcc, 0
	s_addc_u32 s5, s8, s10
	v_mad_u64_u32 v[2:3], s[8:9], v21, s5, 0
	v_mul_hi_u32 v5, v21, v4
	s_load_dwordx2 s[6:7], s[6:7], 0x0
	s_waitcnt lgkmcnt(0)
	s_barrier
	v_add_co_u32_e32 v8, vcc, v5, v2
	v_addc_co_u32_e32 v9, vcc, 0, v3, vcc
	v_mad_u64_u32 v[2:3], s[8:9], v7, v4, 0
	v_mad_u64_u32 v[4:5], s[8:9], v7, s5, 0
	v_add_co_u32_e32 v2, vcc, v8, v2
	v_addc_co_u32_e32 v2, vcc, v9, v3, vcc
	v_addc_co_u32_e32 v3, vcc, 0, v5, vcc
	v_add_co_u32_e32 v2, vcc, v2, v4
	v_addc_co_u32_e32 v4, vcc, 0, v3, vcc
	v_mad_u64_u32 v[2:3], s[8:9], v2, 7, 0
	s_movk_i32 s5, 0x44
	v_mad_u64_u32 v[3:4], s[8:9], v4, 7, v[3:4]
	v_sub_co_u32_e32 v2, vcc, v21, v2
	v_subb_co_u32_e32 v3, vcc, v7, v3, vcc
	v_subrev_co_u32_e32 v4, vcc, 7, v2
	v_subbrev_co_u32_e32 v5, vcc, 0, v3, vcc
	v_cmp_lt_u32_e32 vcc, 6, v4
	v_cndmask_b32_e64 v7, 0, -1, vcc
	v_cmp_eq_u32_e32 vcc, 0, v5
	v_cndmask_b32_e32 v5, -1, v7, vcc
	v_add_u32_e32 v7, -7, v4
	v_cmp_ne_u32_e32 vcc, 0, v5
	v_cndmask_b32_e32 v4, v4, v7, vcc
	v_cmp_lt_u32_e32 vcc, 6, v2
	v_cndmask_b32_e64 v5, 0, -1, vcc
	v_cmp_eq_u32_e32 vcc, 0, v3
	v_cndmask_b32_e32 v3, -1, v5, vcc
	v_cmp_ne_u32_e32 vcc, 0, v3
	v_cndmask_b32_e32 v2, v2, v4, vcc
	v_mul_u32_u24_e32 v3, 17, v6
	v_mul_u32_u24_e32 v2, 0x121, v2
	v_sub_u32_e32 v22, v0, v3
	v_lshlrev_b32_e32 v0, 2, v2
	v_lshlrev_b32_e32 v3, 2, v22
	v_add_u32_e32 v2, 0, v0
	v_add3_u32 v20, 0, v3, v0
	v_add_u32_e32 v23, v2, v3
	ds_read2_b32 v[31:32], v20 offset0:17 offset1:34
	v_mad_i32_i24 v0, v22, s5, v2
	ds_read2_b32 v[2:3], v20 offset0:119 offset1:136
	ds_read2_b32 v[4:5], v20 offset0:153 offset1:170
	ds_read2_b32 v[6:7], v20 offset0:187 offset1:204
	ds_read2_b32 v[10:11], v20 offset0:221 offset1:238
	ds_read_b32 v25, v23
	v_add_u32_e32 v24, 0x200, v20
	ds_read2_b32 v[12:13], v20 offset0:51 offset1:68
	ds_read2_b32 v[28:29], v24 offset0:127 offset1:144
	;; [unrolled: 1-line block ×3, first 2 shown]
	s_mov_b32 s33, 0xb5c8
	s_movk_i32 s9, 0x3b76
	s_waitcnt lgkmcnt(3)
	v_pk_add_f16 v26, v25, v31
	v_pk_add_f16 v26, v26, v32
	s_waitcnt lgkmcnt(2)
	v_pk_add_f16 v26, v26, v12
	v_pk_add_f16 v26, v26, v13
	;; [unrolled: 3-line block ×3, first 2 shown]
	v_pk_add_f16 v26, v26, v2
	v_pk_add_f16 v26, v26, v3
	;; [unrolled: 1-line block ×10, first 2 shown]
	v_pk_add_f16 v26, v31, v29 neg_lo:[0,1] neg_hi:[0,1]
	v_pk_add_f16 v27, v29, v31
	v_mul_f16_sdwa v29, v26, s33 dst_sel:DWORD dst_unused:UNUSED_PAD src0_sel:WORD_1 src1_sel:DWORD
	v_fma_f16 v31, v27, s9, -v29
	v_fma_f16 v29, v27, s9, v29
	s_mov_b32 s5, 0x3b7639e9
	v_add_f16_e32 v34, v25, v29
	v_pk_mul_f16 v29, v27, s5
	s_mov_b32 s5, 0xb964b5c8
	v_pk_fma_f16 v33, v26, s5, v29 op_sel:[0,0,1] op_sel_hi:[1,1,0] neg_lo:[1,0,0] neg_hi:[1,0,0]
	v_pk_fma_f16 v29, v26, s5, v29 op_sel:[0,0,1] op_sel_hi:[1,1,0]
	s_mov_b32 s15, 0xffff
	v_lshrrev_b32_e32 v36, 16, v27
	v_mul_f16_e32 v37, 0xb964, v26
	s_movk_i32 s10, 0x39e9
	v_bfi_b32 v35, s15, v29, v33
	v_pk_add_f16 v39, v25, v29 op_sel:[1,0] op_sel_hi:[0,1]
	v_fma_f16 v29, v36, s10, -v37
	s_mov_b32 s31, 0xbb29
	v_fma_f16 v38, v36, s10, v37
	v_add_f16_sdwa v37, v25, v29 dst_sel:DWORD dst_unused:UNUSED_PAD src0_sel:WORD_1 src1_sel:DWORD
	v_mul_f16_sdwa v29, v26, s31 dst_sel:DWORD dst_unused:UNUSED_PAD src0_sel:WORD_1 src1_sel:DWORD
	s_movk_i32 s8, 0x3722
	v_fma_f16 v40, v27, s8, -v29
	v_mul_f16_e32 v41, 0xbb29, v26
	v_fma_f16 v29, v27, s8, v29
	v_add_f16_e32 v43, v25, v29
	v_fma_f16 v29, v36, s8, -v41
	s_mov_b32 s34, 0xbbf7
	v_fma_f16 v42, v36, s8, v41
	v_add_f16_sdwa v41, v25, v29 dst_sel:DWORD dst_unused:UNUSED_PAD src0_sel:WORD_1 src1_sel:DWORD
	v_mul_f16_sdwa v29, v26, s34 dst_sel:DWORD dst_unused:UNUSED_PAD src0_sel:WORD_1 src1_sel:DWORD
	s_movk_i32 s5, 0x2de8
	v_fma_f16 v44, v27, s5, -v29
	v_mul_f16_e32 v45, 0xbbf7, v26
	v_fma_f16 v29, v27, s5, v29
	v_add_f16_e32 v47, v25, v29
	v_fma_f16 v29, v36, s5, -v45
	s_mov_b32 s20, 0xbbb2
	v_fma_f16 v46, v36, s5, v45
	v_add_f16_sdwa v45, v25, v29 dst_sel:DWORD dst_unused:UNUSED_PAD src0_sel:WORD_1 src1_sel:DWORD
	v_mul_f16_sdwa v29, v26, s20 dst_sel:DWORD dst_unused:UNUSED_PAD src0_sel:WORD_1 src1_sel:DWORD
	s_mov_b32 s11, 0xb461
	v_fma_f16 v48, v27, s11, -v29
	v_mul_f16_e32 v49, 0xbbb2, v26
	v_fma_f16 v29, v27, s11, v29
	v_add_f16_e32 v51, v25, v29
	v_fma_f16 v29, v36, s11, -v49
	s_mov_b32 s21, 0xba62
	v_fma_f16 v50, v36, s11, v49
	v_add_f16_sdwa v49, v25, v29 dst_sel:DWORD dst_unused:UNUSED_PAD src0_sel:WORD_1 src1_sel:DWORD
	v_mul_f16_sdwa v29, v26, s21 dst_sel:DWORD dst_unused:UNUSED_PAD src0_sel:WORD_1 src1_sel:DWORD
	s_mov_b32 s12, 0xb8d2
	;; [unrolled: 10-line block ×3, first 2 shown]
	v_fma_f16 v56, v27, s13, -v29
	v_mul_f16_e32 v57, 0xb836, v26
	v_fma_f16 v29, v27, s13, v29
	v_add_f16_e32 v59, v25, v29
	v_fma_f16 v29, v36, s13, -v57
	s_mov_b32 s35, 0xb964
	v_fma_f16 v58, v36, s13, v57
	v_add_f16_sdwa v57, v25, v29 dst_sel:DWORD dst_unused:UNUSED_PAD src0_sel:WORD_1 src1_sel:DWORD
	v_pk_add_f16 v29, v28, v32
	v_pk_add_f16 v28, v32, v28 neg_lo:[0,1] neg_hi:[0,1]
	v_mul_f16_sdwa v32, v28, s35 dst_sel:DWORD dst_unused:UNUSED_PAD src0_sel:WORD_1 src1_sel:DWORD
	v_add_f16_e32 v31, v25, v31
	v_fma_f16 v36, v29, s10, -v32
	v_add_f16_e32 v60, v36, v31
	v_fma_f16 v31, v29, s10, v32
	s_mov_b32 s14, 0x39e92de8
	v_add_f16_e32 v32, v31, v34
	v_pk_mul_f16 v31, v29, s14
	s_mov_b32 s14, 0xbbf7b964
	v_pk_fma_f16 v36, v28, s14, v31 op_sel:[0,0,1] op_sel_hi:[1,1,0] neg_lo:[1,0,0] neg_hi:[1,0,0]
	v_pk_fma_f16 v31, v28, s14, v31 op_sel:[0,0,1] op_sel_hi:[1,1,0]
	v_pk_add_f16 v35, v25, v35 op_sel:[1,0] op_sel_hi:[0,1]
	v_bfi_b32 v34, s15, v31, v36
	v_pk_add_f16 v34, v34, v35
	v_lshrrev_b32_e32 v35, 16, v29
	v_mul_f16_e32 v61, 0xbbf7, v28
	v_pk_add_f16 v39, v31, v39
	v_fma_f16 v31, v35, s5, -v61
	v_add_f16_e32 v37, v31, v37
	v_mul_f16_sdwa v31, v28, s21 dst_sel:DWORD dst_unused:UNUSED_PAD src0_sel:WORD_1 src1_sel:DWORD
	v_add_f16_e32 v40, v25, v40
	v_fma_f16 v62, v35, s5, v61
	v_fma_f16 v61, v29, s12, -v31
	v_add_f16_e32 v61, v61, v40
	v_mul_f16_e32 v40, 0xba62, v28
	v_fma_f16 v31, v29, s12, v31
	v_add_f16_e32 v43, v31, v43
	v_fma_f16 v31, v35, s12, -v40
	s_mov_b32 s25, 0xb1e1
	v_add_f16_sdwa v38, v25, v38 dst_sel:DWORD dst_unused:UNUSED_PAD src0_sel:WORD_1 src1_sel:DWORD
	v_add_f16_e32 v41, v31, v41
	v_mul_f16_sdwa v31, v28, s25 dst_sel:DWORD dst_unused:UNUSED_PAD src0_sel:WORD_1 src1_sel:DWORD
	s_mov_b32 s14, 0xbbdd
	v_add_f16_e32 v44, v25, v44
	v_add_f16_e32 v38, v62, v38
	v_fma_f16 v62, v35, s12, v40
	v_fma_f16 v40, v29, s14, -v31
	v_add_f16_e32 v44, v40, v44
	v_mul_f16_e32 v40, 0xb1e1, v28
	v_fma_f16 v31, v29, s14, v31
	v_add_f16_e32 v47, v31, v47
	v_fma_f16 v31, v35, s14, -v40
	s_movk_i32 s26, 0x3836
	v_add_f16_sdwa v42, v25, v42 dst_sel:DWORD dst_unused:UNUSED_PAD src0_sel:WORD_1 src1_sel:DWORD
	v_add_f16_e32 v45, v31, v45
	v_mul_f16_sdwa v31, v28, s26 dst_sel:DWORD dst_unused:UNUSED_PAD src0_sel:WORD_1 src1_sel:DWORD
	v_add_f16_e32 v48, v25, v48
	v_add_f16_e32 v42, v62, v42
	v_fma_f16 v62, v35, s14, v40
	v_fma_f16 v40, v29, s13, -v31
	v_add_f16_e32 v48, v40, v48
	v_mul_f16_e32 v40, 0x3836, v28
	v_fma_f16 v31, v29, s13, v31
	v_add_f16_e32 v51, v31, v51
	v_fma_f16 v31, v35, s13, -v40
	s_movk_i32 s30, 0x3bb2
	v_add_f16_sdwa v46, v25, v46 dst_sel:DWORD dst_unused:UNUSED_PAD src0_sel:WORD_1 src1_sel:DWORD
	v_add_f16_e32 v49, v31, v49
	v_mul_f16_sdwa v31, v28, s30 dst_sel:DWORD dst_unused:UNUSED_PAD src0_sel:WORD_1 src1_sel:DWORD
	;; [unrolled: 13-line block ×3, first 2 shown]
	v_add_f16_e32 v56, v25, v56
	v_add_f16_e32 v50, v62, v50
	v_fma_f16 v62, v35, s11, v40
	v_fma_f16 v40, v29, s8, -v31
	v_add_f16_e32 v56, v40, v56
	v_mul_f16_e32 v40, 0x3b29, v28
	v_fma_f16 v31, v29, s8, v31
	v_add_f16_sdwa v54, v25, v54 dst_sel:DWORD dst_unused:UNUSED_PAD src0_sel:WORD_1 src1_sel:DWORD
	v_add_f16_e32 v59, v31, v59
	v_fma_f16 v31, v35, s8, -v40
	v_add_f16_e32 v54, v62, v54
	v_fma_f16 v62, v35, s8, v40
	v_add_f16_e32 v35, v31, v57
	v_pk_add_f16 v31, v11, v12
	v_pk_add_f16 v11, v12, v11 neg_lo:[0,1] neg_hi:[0,1]
	v_mul_f16_sdwa v12, v11, s31 dst_sel:DWORD dst_unused:UNUSED_PAD src0_sel:WORD_1 src1_sel:DWORD
	v_fma_f16 v40, v31, s8, -v12
	v_fma_f16 v12, v31, s8, v12
	s_mov_b32 s27, 0x3722b8d2
	v_add_f16_e32 v32, v12, v32
	v_pk_mul_f16 v12, v31, s27
	s_mov_b32 s27, 0xba62bb29
	v_add_f16_e32 v57, v40, v60
	v_pk_fma_f16 v40, v11, s27, v12 op_sel:[0,0,1] op_sel_hi:[1,1,0] neg_lo:[1,0,0] neg_hi:[1,0,0]
	v_pk_fma_f16 v12, v11, s27, v12 op_sel:[0,0,1] op_sel_hi:[1,1,0]
	v_add_f16_sdwa v58, v25, v58 dst_sel:DWORD dst_unused:UNUSED_PAD src0_sel:WORD_1 src1_sel:DWORD
	v_bfi_b32 v60, s15, v12, v40
	v_add_f16_e32 v58, v62, v58
	v_pk_add_f16 v34, v60, v34
	v_lshrrev_b32_e32 v60, 16, v31
	v_mul_f16_e32 v62, 0xba62, v11
	v_pk_add_f16 v39, v12, v39
	v_fma_f16 v12, v60, s12, -v62
	s_movk_i32 s27, 0x31e1
	v_add_f16_e32 v37, v12, v37
	v_mul_f16_sdwa v12, v11, s27 dst_sel:DWORD dst_unused:UNUSED_PAD src0_sel:WORD_1 src1_sel:DWORD
	v_fma_f16 v63, v60, s12, v62
	v_fma_f16 v62, v31, s14, -v12
	v_add_f16_e32 v61, v62, v61
	v_mul_f16_e32 v62, 0x31e1, v11
	v_fma_f16 v12, v31, s14, v12
	v_add_f16_e32 v43, v12, v43
	v_fma_f16 v12, v60, s14, -v62
	v_add_f16_e32 v38, v63, v38
	v_fma_f16 v63, v60, s14, v62
	v_add_f16_e32 v62, v12, v41
	v_mul_f16_sdwa v12, v11, s30 dst_sel:DWORD dst_unused:UNUSED_PAD src0_sel:WORD_1 src1_sel:DWORD
	v_fma_f16 v41, v31, s11, -v12
	v_add_f16_e32 v44, v41, v44
	v_mul_f16_e32 v41, 0x3bb2, v11
	v_fma_f16 v12, v31, s11, v12
	v_add_f16_e32 v47, v12, v47
	v_fma_f16 v12, v60, s11, -v41
	s_movk_i32 s27, 0x3964
	v_add_f16_e32 v45, v12, v45
	v_mul_f16_sdwa v12, v11, s27 dst_sel:DWORD dst_unused:UNUSED_PAD src0_sel:WORD_1 src1_sel:DWORD
	v_add_f16_e32 v42, v63, v42
	v_fma_f16 v63, v60, s11, v41
	v_fma_f16 v41, v31, s10, -v12
	v_add_f16_e32 v48, v41, v48
	v_mul_f16_e32 v41, 0x3964, v11
	v_fma_f16 v12, v31, s10, v12
	v_add_f16_e32 v51, v12, v51
	v_fma_f16 v12, v60, s10, -v41
	v_add_f16_e32 v49, v12, v49
	v_mul_f16_sdwa v12, v11, s33 dst_sel:DWORD dst_unused:UNUSED_PAD src0_sel:WORD_1 src1_sel:DWORD
	v_add_f16_e32 v46, v63, v46
	v_fma_f16 v63, v60, s10, v41
	v_fma_f16 v41, v31, s9, -v12
	v_add_f16_e32 v52, v41, v52
	v_mul_f16_e32 v41, 0xb5c8, v11
	v_fma_f16 v12, v31, s9, v12
	v_add_f16_e32 v55, v12, v55
	v_fma_f16 v12, v60, s9, -v41
	;; [unrolled: 10-line block ×3, first 2 shown]
	v_add_f16_e32 v35, v12, v35
	v_pk_add_f16 v12, v10, v13
	v_pk_add_f16 v10, v13, v10 neg_lo:[0,1] neg_hi:[0,1]
	v_mul_f16_sdwa v13, v10, s34 dst_sel:DWORD dst_unused:UNUSED_PAD src0_sel:WORD_1 src1_sel:DWORD
	v_add_f16_e32 v54, v63, v54
	v_fma_f16 v63, v60, s5, v41
	v_fma_f16 v41, v12, s5, -v13
	v_fma_f16 v13, v12, s5, v13
	s_mov_b32 s36, 0x2de8bbdd
	v_add_f16_e32 v32, v13, v32
	v_pk_mul_f16 v13, v12, s36
	s_mov_b32 s36, 0xb1e1bbf7
	v_add_f16_e32 v57, v41, v57
	v_pk_fma_f16 v41, v10, s36, v13 op_sel:[0,0,1] op_sel_hi:[1,1,0] neg_lo:[1,0,0] neg_hi:[1,0,0]
	v_pk_fma_f16 v13, v10, s36, v13 op_sel:[0,0,1] op_sel_hi:[1,1,0]
	v_bfi_b32 v60, s15, v13, v41
	v_add_f16_e32 v58, v63, v58
	v_pk_add_f16 v34, v60, v34
	v_lshrrev_b32_e32 v60, 16, v12
	v_mul_f16_e32 v63, 0xb1e1, v10
	v_pk_add_f16 v39, v13, v39
	v_fma_f16 v13, v60, s14, -v63
	v_add_f16_e32 v37, v13, v37
	v_mul_f16_sdwa v13, v10, s30 dst_sel:DWORD dst_unused:UNUSED_PAD src0_sel:WORD_1 src1_sel:DWORD
	v_fma_f16 v64, v60, s14, v63
	v_fma_f16 v63, v12, s11, -v13
	v_add_f16_e32 v61, v63, v61
	v_mul_f16_e32 v63, 0x3bb2, v10
	v_fma_f16 v13, v12, s11, v13
	v_add_f16_e32 v43, v13, v43
	v_fma_f16 v13, v60, s11, -v63
	s_movk_i32 s30, 0x35c8
	v_add_f16_e32 v38, v64, v38
	v_fma_f16 v64, v60, s11, v63
	v_add_f16_e32 v62, v13, v62
	v_mul_f16_sdwa v13, v10, s30 dst_sel:DWORD dst_unused:UNUSED_PAD src0_sel:WORD_1 src1_sel:DWORD
	v_add_f16_e32 v64, v64, v42
	v_fma_f16 v42, v12, s9, -v13
	v_add_f16_e32 v44, v42, v44
	v_mul_f16_e32 v42, 0x35c8, v10
	v_fma_f16 v13, v12, s9, v13
	v_add_f16_e32 v47, v13, v47
	v_fma_f16 v13, v60, s9, -v42
	v_add_f16_e32 v45, v13, v45
	v_mul_f16_sdwa v13, v10, s31 dst_sel:DWORD dst_unused:UNUSED_PAD src0_sel:WORD_1 src1_sel:DWORD
	v_fma_f16 v63, v60, s9, v42
	v_fma_f16 v42, v12, s8, -v13
	v_add_f16_e32 v48, v42, v48
	v_mul_f16_e32 v42, 0xbb29, v10
	v_fma_f16 v13, v12, s8, v13
	v_add_f16_e32 v51, v13, v51
	v_fma_f16 v13, v60, s8, -v42
	v_add_f16_e32 v49, v13, v49
	v_mul_f16_sdwa v13, v10, s24 dst_sel:DWORD dst_unused:UNUSED_PAD src0_sel:WORD_1 src1_sel:DWORD
	v_add_f16_e32 v46, v63, v46
	v_fma_f16 v63, v60, s8, v42
	v_fma_f16 v42, v12, s13, -v13
	v_add_f16_e32 v52, v42, v52
	v_mul_f16_e32 v42, 0xb836, v10
	v_fma_f16 v13, v12, s13, v13
	v_add_f16_e32 v55, v13, v55
	v_fma_f16 v13, v60, s13, -v42
	s_movk_i32 s36, 0x3a62
	v_add_f16_e32 v53, v13, v53
	v_mul_f16_sdwa v13, v10, s36 dst_sel:DWORD dst_unused:UNUSED_PAD src0_sel:WORD_1 src1_sel:DWORD
	v_add_f16_e32 v50, v63, v50
	v_fma_f16 v63, v60, s13, v42
	v_fma_f16 v42, v12, s12, -v13
	v_add_f16_e32 v56, v42, v56
	v_mul_f16_e32 v42, 0x3a62, v10
	v_fma_f16 v13, v12, s12, v13
	v_add_f16_e32 v59, v13, v59
	v_fma_f16 v13, v60, s12, -v42
	v_add_f16_e32 v35, v13, v35
	v_pk_add_f16 v13, v7, v8
	v_pk_add_f16 v7, v8, v7 neg_lo:[0,1] neg_hi:[0,1]
	v_mul_f16_sdwa v8, v7, s20 dst_sel:DWORD dst_unused:UNUSED_PAD src0_sel:WORD_1 src1_sel:DWORD
	v_add_f16_e32 v54, v63, v54
	v_fma_f16 v63, v60, s12, v42
	v_fma_f16 v42, v13, s11, -v8
	v_fma_f16 v8, v13, s11, v8
	s_mov_b32 s37, 0xb461bacd
	v_add_f16_e32 v60, v8, v32
	v_pk_mul_f16 v8, v13, s37
	s_mov_b32 s37, 0x3836bbb2
	v_add_f16_e32 v57, v42, v57
	v_pk_fma_f16 v42, v7, s37, v8 op_sel:[0,0,1] op_sel_hi:[1,1,0] neg_lo:[1,0,0] neg_hi:[1,0,0]
	v_pk_fma_f16 v8, v7, s37, v8 op_sel:[0,0,1] op_sel_hi:[1,1,0]
	v_bfi_b32 v32, s15, v8, v42
	v_add_f16_e32 v58, v63, v58
	v_pk_add_f16 v34, v32, v34
	v_lshrrev_b32_e32 v32, 16, v13
	v_mul_f16_e32 v63, 0x3836, v7
	v_pk_add_f16 v39, v8, v39
	v_fma_f16 v8, v32, s13, -v63
	v_add_f16_e32 v37, v8, v37
	v_mul_f16_sdwa v8, v7, s27 dst_sel:DWORD dst_unused:UNUSED_PAD src0_sel:WORD_1 src1_sel:DWORD
	v_fma_f16 v65, v32, s13, v63
	v_fma_f16 v63, v13, s10, -v8
	v_add_f16_e32 v61, v63, v61
	v_mul_f16_e32 v63, 0x3964, v7
	v_add_f16_e32 v38, v65, v38
	v_fma_f16 v65, v32, s10, v63
	v_fma_f16 v8, v13, s10, v8
	v_add_f16_e32 v64, v65, v64
	v_add_f16_e32 v65, v8, v43
	v_fma_f16 v8, v32, s10, -v63
	v_add_f16_e32 v62, v8, v62
	v_mul_f16_sdwa v8, v7, s31 dst_sel:DWORD dst_unused:UNUSED_PAD src0_sel:WORD_1 src1_sel:DWORD
	v_fma_f16 v43, v13, s8, -v8
	v_add_f16_e32 v44, v43, v44
	v_mul_f16_e32 v43, 0xbb29, v7
	v_fma_f16 v8, v13, s8, v8
	v_add_f16_e32 v47, v8, v47
	v_fma_f16 v8, v32, s8, -v43
	v_add_f16_e32 v45, v8, v45
	v_mul_f16_sdwa v8, v7, s25 dst_sel:DWORD dst_unused:UNUSED_PAD src0_sel:WORD_1 src1_sel:DWORD
	v_fma_f16 v63, v32, s8, v43
	v_fma_f16 v43, v13, s14, -v8
	v_add_f16_e32 v48, v43, v48
	v_mul_f16_e32 v43, 0xb1e1, v7
	v_fma_f16 v8, v13, s14, v8
	v_add_f16_e32 v51, v8, v51
	v_fma_f16 v8, v32, s14, -v43
	s_movk_i32 s31, 0x3bf7
	v_add_f16_e32 v49, v8, v49
	v_mul_f16_sdwa v8, v7, s31 dst_sel:DWORD dst_unused:UNUSED_PAD src0_sel:WORD_1 src1_sel:DWORD
	v_add_f16_e32 v46, v63, v46
	v_fma_f16 v63, v32, s14, v43
	v_fma_f16 v43, v13, s5, -v8
	v_add_f16_e32 v52, v43, v52
	v_mul_f16_e32 v43, 0x3bf7, v7
	v_fma_f16 v8, v13, s5, v8
	v_add_f16_e32 v55, v8, v55
	v_fma_f16 v8, v32, s5, -v43
	v_add_f16_e32 v53, v8, v53
	v_mul_f16_sdwa v8, v7, s33 dst_sel:DWORD dst_unused:UNUSED_PAD src0_sel:WORD_1 src1_sel:DWORD
	v_add_f16_e32 v50, v63, v50
	v_fma_f16 v63, v32, s5, v43
	v_fma_f16 v43, v13, s9, -v8
	v_add_f16_e32 v56, v43, v56
	v_mul_f16_e32 v43, 0xb5c8, v7
	v_fma_f16 v8, v13, s9, v8
	v_add_f16_e32 v59, v8, v59
	v_fma_f16 v8, v32, s9, -v43
	v_add_f16_e32 v35, v8, v35
	v_pk_add_f16 v8, v9, v6 neg_lo:[0,1] neg_hi:[0,1]
	v_add_f16_e32 v54, v63, v54
	v_fma_f16 v63, v32, s9, v43
	v_pk_add_f16 v32, v6, v9
	v_mul_f16_sdwa v6, v8, s21 dst_sel:DWORD dst_unused:UNUSED_PAD src0_sel:WORD_1 src1_sel:DWORD
	v_fma_f16 v9, v32, s12, -v6
	v_fma_f16 v6, v32, s12, v6
	s_mov_b32 s37, 0xb8d2b461
	v_add_f16_e32 v60, v6, v60
	v_pk_mul_f16 v6, v32, s37
	s_mov_b32 s37, 0x3bb2ba62
	v_pk_fma_f16 v43, v8, s37, v6 op_sel:[0,0,1] op_sel_hi:[1,1,0] neg_lo:[1,0,0] neg_hi:[1,0,0]
	v_pk_fma_f16 v6, v8, s37, v6 op_sel:[0,0,1] op_sel_hi:[1,1,0]
	v_add_f16_e32 v57, v9, v57
	v_bfi_b32 v9, s15, v6, v43
	v_add_f16_e32 v58, v63, v58
	v_pk_add_f16 v63, v9, v34
	v_lshrrev_b32_e32 v34, 16, v32
	v_mul_f16_e32 v9, 0x3bb2, v8
	v_fma_f16 v66, v34, s11, v9
	v_fma_f16 v9, v34, s11, -v9
	v_add_f16_e32 v37, v9, v37
	v_mul_f16_sdwa v9, v8, s33 dst_sel:DWORD dst_unused:UNUSED_PAD src0_sel:WORD_1 src1_sel:DWORD
	v_pk_add_f16 v6, v6, v39
	v_fma_f16 v39, v32, s9, -v9
	v_add_f16_e32 v39, v39, v61
	v_mul_f16_e32 v61, 0xb5c8, v8
	v_fma_f16 v9, v32, s9, v9
	v_add_f16_e32 v38, v66, v38
	v_fma_f16 v66, v34, s9, v61
	v_add_f16_e32 v65, v9, v65
	v_fma_f16 v9, v34, s9, -v61
	v_mul_f16_sdwa v61, v8, s24 dst_sel:DWORD dst_unused:UNUSED_PAD src0_sel:WORD_1 src1_sel:DWORD
	v_add_f16_e32 v9, v9, v62
	v_fma_f16 v62, v32, s13, -v61
	v_add_f16_e32 v44, v62, v44
	v_mul_f16_e32 v62, 0xb836, v8
	v_fma_f16 v61, v32, s13, v61
	v_add_f16_e32 v47, v61, v47
	v_fma_f16 v61, v34, s13, -v62
	v_add_f16_e32 v45, v61, v45
	v_mul_f16_sdwa v61, v8, s31 dst_sel:DWORD dst_unused:UNUSED_PAD src0_sel:WORD_1 src1_sel:DWORD
	v_add_f16_e32 v64, v66, v64
	v_fma_f16 v66, v34, s13, v62
	v_fma_f16 v62, v32, s5, -v61
	v_add_f16_e32 v48, v62, v48
	v_mul_f16_e32 v62, 0x3bf7, v8
	v_fma_f16 v61, v32, s5, v61
	v_add_f16_e32 v51, v61, v51
	v_fma_f16 v61, v34, s5, -v62
	v_add_f16_e32 v49, v61, v49
	v_mul_f16_sdwa v61, v8, s35 dst_sel:DWORD dst_unused:UNUSED_PAD src0_sel:WORD_1 src1_sel:DWORD
	v_add_f16_e32 v46, v66, v46
	v_fma_f16 v66, v34, s5, v62
	v_fma_f16 v62, v32, s10, -v61
	v_add_f16_e32 v52, v62, v52
	v_mul_f16_e32 v62, 0xb964, v8
	v_fma_f16 v61, v32, s10, v61
	v_add_f16_e32 v55, v61, v55
	v_fma_f16 v61, v34, s10, -v62
	v_add_f16_e32 v53, v61, v53
	v_mul_f16_sdwa v61, v8, s25 dst_sel:DWORD dst_unused:UNUSED_PAD src0_sel:WORD_1 src1_sel:DWORD
	v_add_f16_e32 v50, v66, v50
	v_fma_f16 v66, v34, s10, v62
	v_fma_f16 v62, v32, s14, -v61
	v_add_f16_e32 v56, v62, v56
	v_mul_f16_e32 v62, 0xb1e1, v8
	v_add_f16_e32 v54, v66, v54
	v_fma_f16 v66, v34, s14, v62
	v_fma_f16 v61, v32, s14, v61
	v_fma_f16 v34, v34, s14, -v62
	v_add_f16_e32 v59, v61, v59
	v_add_f16_e32 v61, v34, v35
	v_pk_add_f16 v34, v5, v2
	v_pk_add_f16 v5, v2, v5 neg_lo:[0,1] neg_hi:[0,1]
	v_mul_f16_sdwa v2, v5, s24 dst_sel:DWORD dst_unused:UNUSED_PAD src0_sel:WORD_1 src1_sel:DWORD
	v_fma_f16 v35, v34, s13, -v2
	v_fma_f16 v2, v34, s13, v2
	s_mov_b32 s35, 0xbacd3722
	v_add_f16_e32 v60, v2, v60
	v_pk_mul_f16 v2, v34, s35
	s_mov_b32 s35, 0x3b29b836
	v_pk_fma_f16 v62, v5, s35, v2 op_sel:[0,0,1] op_sel_hi:[1,1,0] neg_lo:[1,0,0] neg_hi:[1,0,0]
	v_pk_fma_f16 v2, v5, s35, v2 op_sel:[0,0,1] op_sel_hi:[1,1,0]
	v_add_f16_e32 v57, v35, v57
	v_bfi_b32 v35, s15, v2, v62
	v_add_f16_e32 v58, v66, v58
	v_pk_add_f16 v63, v35, v63
	v_lshrrev_b32_e32 v66, 16, v34
	v_mul_f16_e32 v35, 0x3b29, v5
	v_fma_f16 v67, v66, s8, v35
	v_fma_f16 v35, v66, s8, -v35
	v_add_f16_e32 v68, v35, v37
	v_mul_f16_sdwa v35, v5, s34 dst_sel:DWORD dst_unused:UNUSED_PAD src0_sel:WORD_1 src1_sel:DWORD
	v_fma_f16 v37, v34, s5, -v35
	v_add_f16_e32 v69, v37, v39
	v_mul_f16_e32 v37, 0xbbf7, v5
	v_fma_f16 v35, v34, s5, v35
	v_add_f16_e32 v67, v67, v38
	v_fma_f16 v38, v66, s5, v37
	v_add_f16_e32 v65, v35, v65
	v_fma_f16 v35, v66, s5, -v37
	v_mul_f16_sdwa v37, v5, s36 dst_sel:DWORD dst_unused:UNUSED_PAD src0_sel:WORD_1 src1_sel:DWORD
	v_add_f16_e32 v64, v38, v64
	v_fma_f16 v38, v34, s12, -v37
	v_add_f16_e32 v44, v38, v44
	v_mul_f16_e32 v38, 0x3a62, v5
	v_fma_f16 v37, v34, s12, v37
	v_add_f16_e32 v47, v37, v47
	v_fma_f16 v37, v66, s12, -v38
	v_add_f16_e32 v45, v37, v45
	v_mul_f16_sdwa v37, v5, s33 dst_sel:DWORD dst_unused:UNUSED_PAD src0_sel:WORD_1 src1_sel:DWORD
	v_fma_f16 v39, v66, s12, v38
	v_fma_f16 v38, v34, s9, -v37
	v_add_f16_e32 v48, v38, v48
	v_mul_f16_e32 v38, 0xb5c8, v5
	v_fma_f16 v37, v34, s9, v37
	v_add_f16_e32 v51, v37, v51
	v_fma_f16 v37, v66, s9, -v38
	v_add_f16_e32 v49, v37, v49
	v_mul_f16_sdwa v37, v5, s25 dst_sel:DWORD dst_unused:UNUSED_PAD src0_sel:WORD_1 src1_sel:DWORD
	v_add_f16_e32 v46, v39, v46
	v_fma_f16 v39, v66, s9, v38
	v_fma_f16 v38, v34, s14, -v37
	v_add_f16_e32 v52, v38, v52
	v_mul_f16_e32 v38, 0xb1e1, v5
	v_fma_f16 v37, v34, s14, v37
	v_add_f16_e32 v71, v37, v55
	v_fma_f16 v37, v66, s14, -v38
	v_add_f16_e32 v72, v37, v53
	v_mul_f16_sdwa v37, v5, s27 dst_sel:DWORD dst_unused:UNUSED_PAD src0_sel:WORD_1 src1_sel:DWORD
	v_add_f16_e32 v50, v39, v50
	v_fma_f16 v39, v66, s14, v38
	v_fma_f16 v38, v34, s10, -v37
	v_add_f16_e32 v73, v38, v56
	v_mul_f16_e32 v38, 0x3964, v5
	v_fma_f16 v37, v34, s10, v37
	v_add_f16_e32 v75, v37, v59
	v_fma_f16 v37, v66, s10, -v38
	v_add_f16_e32 v61, v37, v61
	v_pk_add_f16 v37, v4, v3
	v_pk_add_f16 v3, v3, v4 neg_lo:[0,1] neg_hi:[0,1]
	v_add_f16_sdwa v33, v25, v33 dst_sel:DWORD dst_unused:UNUSED_PAD src0_sel:WORD_1 src1_sel:DWORD
	v_mul_f16_sdwa v4, v3, s25 dst_sel:DWORD dst_unused:UNUSED_PAD src0_sel:WORD_1 src1_sel:DWORD
	v_add_f16_e32 v33, v36, v33
	v_add_f16_e32 v70, v39, v54
	v_fma_f16 v39, v66, s10, v38
	v_fma_f16 v38, v37, s14, -v4
	s_mov_b32 s33, 0xbbdd3b76
	v_add_f16_e32 v33, v40, v33
	v_add_f16_e32 v66, v38, v57
	v_pk_mul_f16 v38, v37, s33
	s_mov_b32 s33, 0x35c8b1e1
	v_add_f16_e32 v33, v41, v33
	v_pk_fma_f16 v53, v3, s33, v38 op_sel:[0,0,1] op_sel_hi:[1,1,0] neg_lo:[1,0,0] neg_hi:[1,0,0]
	v_add_f16_e32 v33, v42, v33
	v_pk_fma_f16 v36, v3, s33, v38 op_sel:[0,0,1] op_sel_hi:[1,1,0]
	v_add_f16_e32 v33, v43, v33
	v_bfi_b32 v36, s15, v36, v53
	v_add_f16_e32 v33, v62, v33
	v_pk_add_f16 v62, v36, v63
	v_lshrrev_b32_e32 v63, 16, v37
	v_mul_f16_e32 v36, 0x35c8, v3
	v_fma_f16 v40, v63, s9, v36
	v_mul_f16_sdwa v41, v3, s24 dst_sel:DWORD dst_unused:UNUSED_PAD src0_sel:WORD_1 src1_sel:DWORD
	v_add_f16_e32 v67, v40, v67
	v_fma_f16 v40, v37, s13, -v41
	v_add_f16_e32 v57, v40, v69
	v_mul_f16_e32 v40, 0xbacd, v63
	v_fma_f16 v43, v3, s24, v40
	v_add_f16_e32 v74, v39, v58
	v_add_f16_e32 v58, v43, v64
	v_mul_f16_sdwa v43, v3, s27 dst_sel:DWORD dst_unused:UNUSED_PAD src0_sel:WORD_1 src1_sel:DWORD
	v_add_f16_e32 v33, v53, v33
	v_fma_f16 v53, v37, s10, -v43
	v_add_f16_e32 v59, v53, v44
	v_mul_f16_e32 v44, 0x3964, v3
	v_fma_f16 v53, v63, s10, v44
	v_fma_f16 v44, v63, s10, -v44
	v_fma_f16 v4, v37, s14, v4
	v_add_f16_e32 v44, v44, v45
	v_mul_f16_sdwa v45, v3, s21 dst_sel:DWORD dst_unused:UNUSED_PAD src0_sel:WORD_1 src1_sel:DWORD
	v_add_f16_e32 v4, v4, v60
	v_add_f16_e32 v60, v53, v46
	v_fma_f16 v46, v37, s12, -v45
	v_fma_f16 v43, v37, s10, v43
	v_add_f16_e32 v53, v46, v48
	v_mul_f16_e32 v46, 0xba62, v3
	v_add_f16_e32 v43, v43, v47
	v_fma_f16 v47, v63, s12, v46
	v_add_f16_e32 v54, v47, v50
	v_mul_f16_sdwa v47, v3, s26 dst_sel:DWORD dst_unused:UNUSED_PAD src0_sel:WORD_1 src1_sel:DWORD
	v_fma_f16 v48, v37, s8, -v47
	v_fma_f16 v46, v63, s12, -v46
	v_add_f16_e32 v55, v48, v52
	v_mul_f16_e32 v48, 0x3b29, v3
	v_add_f16_e32 v46, v46, v49
	v_fma_f16 v49, v63, s8, v48
	v_add_f16_e32 v56, v49, v70
	v_mul_f16_sdwa v49, v3, s20 dst_sel:DWORD dst_unused:UNUSED_PAD src0_sel:WORD_1 src1_sel:DWORD
	v_fma_f16 v45, v37, s12, v45
	v_fma_f16 v50, v37, s11, -v49
	v_add_f16_e32 v45, v45, v51
	v_add_f16_e32 v51, v50, v73
	v_mul_f16_e32 v50, 0xbbb2, v3
	v_fma_f16 v52, v63, s11, v50
	v_add_f16_e32 v52, v52, v74
	v_pack_b32_f16 v51, v51, v52
	v_pk_mul_f16 v27, v27, s14 op_sel_hi:[1,0]
	s_barrier
	ds_write2_b32 v0, v30, v51 offset1:7
	v_pk_fma_f16 v30, v26, s25, v27 op_sel:[0,0,1] op_sel_hi:[1,0,0] neg_lo:[1,0,0] neg_hi:[1,0,0]
	v_pk_fma_f16 v26, v26, s25, v27 op_sel:[0,0,1] op_sel_hi:[1,0,0]
	v_pk_add_f16 v30, v25, v30 op_sel:[1,0] op_sel_hi:[0,1]
	v_pk_add_f16 v25, v25, v26 op_sel:[1,0] op_sel_hi:[0,1]
	v_pk_mul_f16 v26, v29, s9 op_sel_hi:[1,0]
	v_pk_fma_f16 v27, v28, s30, v26 op_sel:[0,0,1] op_sel_hi:[1,0,0] neg_lo:[1,0,0] neg_hi:[1,0,0]
	v_pk_fma_f16 v26, v28, s30, v26 op_sel:[0,0,1] op_sel_hi:[1,0,0]
	v_pk_add_f16 v25, v26, v25
	v_pk_mul_f16 v26, v31, s13 op_sel_hi:[1,0]
	v_pk_fma_f16 v28, v11, s24, v26 op_sel:[0,0,1] op_sel_hi:[1,0,0] neg_lo:[1,0,0] neg_hi:[1,0,0]
	v_pk_fma_f16 v11, v11, s24, v26 op_sel:[0,0,1] op_sel_hi:[1,0,0]
	v_pk_mul_f16 v12, v12, s10 op_sel_hi:[1,0]
	v_pk_add_f16 v11, v11, v25
	v_pk_fma_f16 v25, v10, s27, v12 op_sel:[0,0,1] op_sel_hi:[1,0,0] neg_lo:[1,0,0] neg_hi:[1,0,0]
	v_pk_fma_f16 v10, v10, s27, v12 op_sel:[0,0,1] op_sel_hi:[1,0,0]
	v_pk_add_f16 v10, v10, v11
	v_pk_mul_f16 v11, v13, s12 op_sel_hi:[1,0]
	v_pk_fma_f16 v12, v7, s21, v11 op_sel:[0,0,1] op_sel_hi:[1,0,0] neg_lo:[1,0,0] neg_hi:[1,0,0]
	v_pk_fma_f16 v7, v7, s21, v11 op_sel:[0,0,1] op_sel_hi:[1,0,0]
	v_pk_add_f16 v27, v27, v30
	v_pk_add_f16 v7, v7, v10
	v_pk_mul_f16 v10, v32, s8 op_sel_hi:[1,0]
	v_pk_add_f16 v27, v28, v27
	v_pk_fma_f16 v11, v8, s26, v10 op_sel:[0,0,1] op_sel_hi:[1,0,0] neg_lo:[1,0,0] neg_hi:[1,0,0]
	v_pk_fma_f16 v8, v8, s26, v10 op_sel:[0,0,1] op_sel_hi:[1,0,0]
	v_pk_add_f16 v25, v25, v27
	v_pk_add_f16 v7, v8, v7
	v_pk_mul_f16 v8, v34, s11 op_sel_hi:[1,0]
	v_pk_add_f16 v12, v12, v25
	v_pk_fma_f16 v10, v5, s20, v8 op_sel:[0,0,1] op_sel_hi:[1,0,0] neg_lo:[1,0,0] neg_hi:[1,0,0]
	v_pk_fma_f16 v5, v5, s20, v8 op_sel:[0,0,1] op_sel_hi:[1,0,0]
	v_pk_add_f16 v11, v11, v12
	v_pk_add_f16 v5, v5, v7
	v_pk_mul_f16 v7, v37, s5 op_sel_hi:[1,0]
	v_pk_mul_f16 v39, v3, s33
	v_mul_f16_e32 v42, 0xb836, v3
	v_pk_add_f16 v10, v10, v11
	v_pk_fma_f16 v8, v3, s31, v7 op_sel:[0,0,1] op_sel_hi:[1,0,0] neg_lo:[1,0,0] neg_hi:[1,0,0]
	v_pk_fma_f16 v3, v3, s31, v7 op_sel:[0,0,1] op_sel_hi:[1,0,0]
	v_fma_f16 v47, v37, s8, v47
	v_fma_f16 v48, v63, s8, -v48
	v_fma_f16 v49, v37, s11, v49
	v_fma_f16 v50, v63, s11, -v50
	v_pk_add_f16 v8, v8, v10
	v_pk_add_f16 v3, v3, v5
	v_add_f16_e32 v47, v47, v71
	v_add_f16_e32 v48, v48, v72
	;; [unrolled: 1-line block ×4, first 2 shown]
	v_alignbit_b32 v5, v8, v3, 16
	v_alignbit_b32 v3, v3, v8, 16
	ds_write2_b32 v0, v3, v5 offset0:8 offset1:9
	v_pack_b32_f16 v3, v47, v48
	v_pack_b32_f16 v5, v49, v50
	ds_write2_b32 v0, v5, v3 offset0:10 offset1:11
	v_pack_b32_f16 v3, v43, v44
	v_pack_b32_f16 v5, v45, v46
	ds_write2_b32 v0, v5, v3 offset0:12 offset1:13
	v_pack_b32_f16 v3, v35, v38
	v_bfi_b32 v5, s15, v9, v39
	v_pk_add_f16 v3, v3, v5
	v_bfi_b32 v5, s15, v42, v6
	v_pk_add_f16 v5, v40, v5 neg_lo:[0,1] neg_hi:[0,1]
	v_pk_add_f16 v2, v2, v6
	v_fma_f16 v36, v63, s9, -v36
	v_fma_f16 v41, v37, s13, v41
	v_bfi_b32 v2, s15, v5, v2
	v_add_f16_e32 v36, v36, v68
	v_add_f16_e32 v41, v41, v65
	v_pk_add_f16 v2, v2, v3
	v_alignbit_b32 v3, v36, v2, 16
	v_pack_b32_f16 v2, v41, v2
	v_alignbit_b32 v61, v67, v62, 16
	v_pack_b32_f16 v62, v66, v62
	v_pack_b32_f16 v59, v59, v60
	;; [unrolled: 1-line block ×5, first 2 shown]
	ds_write2_b32 v0, v2, v3 offset0:14 offset1:15
	v_pack_b32_f16 v2, v4, v33
	ds_write2_b32 v0, v62, v61 offset0:1 offset1:2
	ds_write2_b32 v0, v57, v59 offset0:3 offset1:4
	ds_write2_b32 v0, v53, v55 offset0:5 offset1:6
	ds_write_b32 v0, v2 offset:64
	v_lshlrev_b32_e32 v0, 4, v22
	v_lshlrev_b64 v[0:1], 2, v[0:1]
	v_mov_b32_e32 v2, s29
	v_add_co_u32_e32 v8, vcc, s28, v0
	v_addc_co_u32_e32 v9, vcc, v2, v1, vcc
	s_waitcnt lgkmcnt(0)
	s_barrier
	global_load_dwordx4 v[0:3], v[8:9], off
	global_load_dwordx4 v[4:7], v[8:9], off offset:16
	global_load_dwordx4 v[31:34], v[8:9], off offset:32
	;; [unrolled: 1-line block ×3, first 2 shown]
	ds_read2_b32 v[8:9], v20 offset0:17 offset1:34
	ds_read2_b32 v[10:11], v20 offset0:51 offset1:68
	;; [unrolled: 1-line block ×3, first 2 shown]
	ds_read_b32 v49, v23
	ds_read_u16 v12, v20 offset:206
	ds_read2_b32 v[39:40], v20 offset0:119 offset1:136
	s_waitcnt lgkmcnt(5)
	v_lshrrev_b32_e32 v27, 16, v8
	s_waitcnt lgkmcnt(4)
	v_lshrrev_b32_e32 v13, 16, v11
	;; [unrolled: 2-line block ×3, first 2 shown]
	ds_read2_b32 v[41:42], v20 offset0:153 offset1:170
	ds_read2_b32 v[45:46], v20 offset0:221 offset1:238
	v_lshrrev_b32_e32 v50, 16, v26
	ds_read2_b32 v[43:44], v20 offset0:187 offset1:204
	s_waitcnt lgkmcnt(3)
	v_lshrrev_b32_e32 v51, 16, v39
	ds_read2_b32 v[47:48], v24 offset0:127 offset1:144
	v_lshrrev_b32_e32 v52, 16, v40
	s_waitcnt lgkmcnt(3)
	v_lshrrev_b32_e32 v53, 16, v41
	s_waitcnt lgkmcnt(2)
	v_lshrrev_b32_e32 v56, 16, v45
	v_lshrrev_b32_e32 v54, 16, v42
	s_waitcnt lgkmcnt(1)
	v_lshrrev_b32_e32 v24, 16, v43
	v_lshrrev_b32_e32 v57, 16, v46
	v_lshrrev_b32_e32 v55, 16, v44
	s_waitcnt lgkmcnt(0)
	v_lshrrev_b32_e32 v58, 16, v47
	v_lshrrev_b32_e32 v59, 16, v48
	v_mul_lo_u32 v22, v22, v21
	v_lshl_add_u32 v21, v21, 4, v21
	s_waitcnt vmcnt(3)
	v_mul_f16_sdwa v28, v0, v27 dst_sel:DWORD dst_unused:UNUSED_PAD src0_sel:WORD_1 src1_sel:DWORD
	v_fma_f16 v60, v0, v8, -v28
	v_mul_f16_sdwa v8, v0, v8 dst_sel:DWORD dst_unused:UNUSED_PAD src0_sel:WORD_1 src1_sel:DWORD
	v_fma_f16 v61, v0, v27, v8
	v_lshrrev_b32_e32 v0, 16, v9
	v_mul_f16_sdwa v8, v1, v0 dst_sel:DWORD dst_unused:UNUSED_PAD src0_sel:WORD_1 src1_sel:DWORD
	v_fma_f16 v62, v1, v9, -v8
	v_mul_f16_sdwa v8, v1, v9 dst_sel:DWORD dst_unused:UNUSED_PAD src0_sel:WORD_1 src1_sel:DWORD
	v_fma_f16 v63, v1, v0, v8
	v_mul_f16_sdwa v0, v12, v2 dst_sel:DWORD dst_unused:UNUSED_PAD src0_sel:DWORD src1_sel:WORD_1
	v_fma_f16 v29, v2, v10, -v0
	v_mul_f16_sdwa v0, v2, v10 dst_sel:DWORD dst_unused:UNUSED_PAD src0_sel:WORD_1 src1_sel:DWORD
	v_fma_f16 v30, v12, v2, v0
	v_mul_f16_sdwa v0, v13, v3 dst_sel:DWORD dst_unused:UNUSED_PAD src0_sel:DWORD src1_sel:WORD_1
	v_fma_f16 v27, v11, v3, -v0
	v_mul_f16_sdwa v0, v11, v3 dst_sel:DWORD dst_unused:UNUSED_PAD src0_sel:DWORD src1_sel:WORD_1
	v_fma_f16 v28, v13, v3, v0
	s_waitcnt vmcnt(2)
	v_mul_f16_sdwa v0, v23, v4 dst_sel:DWORD dst_unused:UNUSED_PAD src0_sel:DWORD src1_sel:WORD_1
	v_fma_f16 v12, v25, v4, -v0
	v_mul_f16_sdwa v0, v25, v4 dst_sel:DWORD dst_unused:UNUSED_PAD src0_sel:DWORD src1_sel:WORD_1
	v_fma_f16 v13, v23, v4, v0
	v_mul_f16_sdwa v0, v50, v5 dst_sel:DWORD dst_unused:UNUSED_PAD src0_sel:DWORD src1_sel:WORD_1
	v_fma_f16 v8, v26, v5, -v0
	v_mul_f16_sdwa v0, v26, v5 dst_sel:DWORD dst_unused:UNUSED_PAD src0_sel:DWORD src1_sel:WORD_1
	v_fma_f16 v9, v50, v5, v0
	;; [unrolled: 4-line block ×3, first 2 shown]
	v_mul_f16_sdwa v0, v52, v7 dst_sel:DWORD dst_unused:UNUSED_PAD src0_sel:DWORD src1_sel:WORD_1
	v_mul_f16_sdwa v1, v40, v7 dst_sel:DWORD dst_unused:UNUSED_PAD src0_sel:DWORD src1_sel:WORD_1
	s_waitcnt vmcnt(1)
	v_mul_f16_sdwa v2, v53, v31 dst_sel:DWORD dst_unused:UNUSED_PAD src0_sel:DWORD src1_sel:WORD_1
	v_mul_f16_sdwa v3, v41, v31 dst_sel:DWORD dst_unused:UNUSED_PAD src0_sel:DWORD src1_sel:WORD_1
	s_waitcnt vmcnt(0)
	v_mul_f16_sdwa v25, v56, v35 dst_sel:DWORD dst_unused:UNUSED_PAD src0_sel:DWORD src1_sel:WORD_1
	v_fma_f16 v0, v40, v7, -v0
	v_fma_f16 v1, v52, v7, v1
	v_fma_f16 v2, v41, v31, -v2
	v_fma_f16 v3, v53, v31, v3
	v_mul_f16_sdwa v6, v54, v32 dst_sel:DWORD dst_unused:UNUSED_PAD src0_sel:DWORD src1_sel:WORD_1
	v_mul_f16_sdwa v7, v42, v32 dst_sel:DWORD dst_unused:UNUSED_PAD src0_sel:DWORD src1_sel:WORD_1
	v_fma_f16 v31, v45, v35, -v25
	v_mul_f16_sdwa v25, v45, v35 dst_sel:DWORD dst_unused:UNUSED_PAD src0_sel:DWORD src1_sel:WORD_1
	v_fma_f16 v6, v42, v32, -v6
	v_fma_f16 v7, v54, v32, v7
	v_mul_f16_sdwa v10, v24, v33 dst_sel:DWORD dst_unused:UNUSED_PAD src0_sel:DWORD src1_sel:WORD_1
	v_mul_f16_sdwa v11, v43, v33 dst_sel:DWORD dst_unused:UNUSED_PAD src0_sel:DWORD src1_sel:WORD_1
	v_fma_f16 v32, v56, v35, v25
	v_mul_f16_sdwa v25, v57, v36 dst_sel:DWORD dst_unused:UNUSED_PAD src0_sel:DWORD src1_sel:WORD_1
	v_fma_f16 v10, v43, v33, -v10
	v_fma_f16 v11, v24, v33, v11
	v_mul_f16_sdwa v23, v55, v34 dst_sel:DWORD dst_unused:UNUSED_PAD src0_sel:DWORD src1_sel:WORD_1
	v_mul_f16_sdwa v24, v44, v34 dst_sel:DWORD dst_unused:UNUSED_PAD src0_sel:DWORD src1_sel:WORD_1
	v_fma_f16 v33, v46, v36, -v25
	v_mul_f16_sdwa v25, v46, v36 dst_sel:DWORD dst_unused:UNUSED_PAD src0_sel:DWORD src1_sel:WORD_1
	v_fma_f16 v23, v44, v34, -v23
	v_fma_f16 v24, v55, v34, v24
	v_fma_f16 v34, v57, v36, v25
	v_mul_f16_sdwa v25, v58, v37 dst_sel:DWORD dst_unused:UNUSED_PAD src0_sel:DWORD src1_sel:WORD_1
	v_fma_f16 v35, v47, v37, -v25
	v_mul_f16_sdwa v25, v47, v37 dst_sel:DWORD dst_unused:UNUSED_PAD src0_sel:DWORD src1_sel:WORD_1
	v_fma_f16 v36, v58, v37, v25
	v_mul_f16_sdwa v25, v59, v38 dst_sel:DWORD dst_unused:UNUSED_PAD src0_sel:DWORD src1_sel:WORD_1
	v_fma_f16 v37, v48, v38, -v25
	v_mul_f16_sdwa v25, v48, v38 dst_sel:DWORD dst_unused:UNUSED_PAD src0_sel:DWORD src1_sel:WORD_1
	v_fma_f16 v38, v59, v38, v25
	v_add_f16_e32 v25, v60, v49
	v_add_f16_sdwa v26, v61, v49 dst_sel:DWORD dst_unused:UNUSED_PAD src0_sel:DWORD src1_sel:WORD_1
	v_add_f16_e32 v25, v25, v62
	v_add_f16_e32 v26, v26, v63
	;; [unrolled: 1-line block ×32, first 2 shown]
	v_sub_f16_e32 v37, v60, v37
	v_sub_f16_e32 v38, v61, v38
	v_mul_f16_e32 v41, 0xb5c8, v38
	v_mul_f16_e32 v43, 0xb5c8, v37
	;; [unrolled: 1-line block ×16, first 2 shown]
	v_fma_f16 v42, v39, s9, -v41
	v_fma_f16 v44, v40, s9, v43
	v_fma_f16 v41, v39, s9, v41
	v_fma_f16 v43, v40, s9, -v43
	v_fma_f16 v46, v39, s10, -v45
	v_fma_f16 v48, v40, s10, v47
	v_fma_f16 v45, v39, s10, v45
	v_fma_f16 v47, v40, s10, -v47
	;; [unrolled: 4-line block ×8, first 2 shown]
	v_add_f16_e32 v40, v63, v36
	v_sub_f16_e32 v36, v63, v36
	v_add_f16_e32 v42, v42, v49
	v_add_f16_sdwa v44, v44, v49 dst_sel:DWORD dst_unused:UNUSED_PAD src0_sel:DWORD src1_sel:WORD_1
	v_add_f16_e32 v41, v41, v49
	v_add_f16_sdwa v43, v43, v49 dst_sel:DWORD dst_unused:UNUSED_PAD src0_sel:DWORD src1_sel:WORD_1
	;; [unrolled: 2-line block ×16, first 2 shown]
	v_add_f16_e32 v39, v62, v35
	v_mul_f16_e32 v49, 0xb964, v36
	v_sub_f16_e32 v35, v62, v35
	v_fma_f16 v62, v39, s10, -v49
	v_add_f16_e32 v42, v62, v42
	v_mul_f16_e32 v62, 0xb964, v35
	v_fma_f16 v49, v39, s10, v49
	v_add_f16_e32 v41, v49, v41
	v_fma_f16 v49, v40, s10, -v62
	v_add_f16_e32 v43, v49, v43
	v_mul_f16_e32 v49, 0xbbf7, v36
	v_fma_f16 v63, v40, s10, v62
	v_fma_f16 v62, v39, s5, -v49
	v_add_f16_e32 v46, v62, v46
	v_mul_f16_e32 v62, 0xbbf7, v35
	v_fma_f16 v49, v39, s5, v49
	v_add_f16_e32 v45, v49, v45
	v_fma_f16 v49, v40, s5, -v62
	v_add_f16_e32 v47, v49, v47
	v_mul_f16_e32 v49, 0xba62, v36
	v_add_f16_e32 v44, v63, v44
	v_fma_f16 v63, v40, s5, v62
	v_fma_f16 v62, v39, s12, -v49
	v_add_f16_e32 v51, v62, v51
	v_mul_f16_e32 v62, 0xba62, v35
	v_fma_f16 v49, v39, s12, v49
	v_add_f16_e32 v49, v49, v50
	v_fma_f16 v50, v40, s12, -v62
	v_add_f16_e32 v50, v50, v52
	v_mul_f16_e32 v52, 0xb1e1, v36
	v_add_f16_e32 v48, v63, v48
	;; [unrolled: 10-line block ×3, first 2 shown]
	v_fma_f16 v63, v40, s14, v62
	v_fma_f16 v62, v39, s13, -v56
	v_add_f16_e32 v59, v62, v59
	v_mul_f16_e32 v62, 0x3836, v35
	v_fma_f16 v56, v39, s13, v56
	v_add_f16_e32 v56, v56, v58
	v_fma_f16 v58, v40, s13, -v62
	v_add_f16_e32 v57, v63, v57
	v_fma_f16 v63, v40, s13, v62
	v_add_f16_e32 v58, v58, v60
	v_mul_f16_e32 v60, 0x3bb2, v36
	v_add_f16_e32 v61, v63, v61
	v_fma_f16 v62, v39, s11, -v60
	v_mul_f16_e32 v63, 0x3bb2, v35
	v_fma_f16 v60, v39, s11, v60
	v_add_f16_e32 v62, v62, v65
	v_fma_f16 v65, v40, s11, v63
	v_add_f16_e32 v60, v60, v64
	v_fma_f16 v63, v40, s11, -v63
	v_mul_f16_e32 v64, 0x3b29, v36
	v_add_f16_e32 v65, v65, v67
	v_add_f16_e32 v63, v63, v66
	v_fma_f16 v66, v39, s8, -v64
	v_mul_f16_e32 v67, 0x3b29, v35
	v_fma_f16 v64, v39, s8, v64
	v_mul_f16_e32 v36, 0x35c8, v36
	v_add_f16_e32 v66, v66, v69
	v_fma_f16 v69, v40, s8, v67
	v_add_f16_e32 v64, v64, v68
	v_fma_f16 v67, v40, s8, -v67
	v_fma_f16 v68, v39, s9, -v36
	v_mul_f16_e32 v35, 0x35c8, v35
	v_fma_f16 v36, v39, s9, v36
	v_add_f16_e32 v67, v67, v70
	v_fma_f16 v70, v40, s9, v35
	v_add_f16_e32 v36, v36, v38
	v_fma_f16 v35, v40, s9, -v35
	v_add_f16_e32 v38, v30, v34
	v_sub_f16_e32 v30, v30, v34
	v_add_f16_e32 v35, v35, v37
	v_add_f16_e32 v37, v29, v33
	v_sub_f16_e32 v29, v29, v33
	v_mul_f16_e32 v33, 0xbb29, v30
	v_fma_f16 v34, v37, s8, -v33
	v_mul_f16_e32 v39, 0xbb29, v29
	v_fma_f16 v33, v37, s8, v33
	v_fma_f16 v40, v38, s8, v39
	v_add_f16_e32 v33, v33, v41
	v_fma_f16 v39, v38, s8, -v39
	v_mul_f16_e32 v41, 0xba62, v30
	v_add_f16_e32 v34, v34, v42
	v_add_f16_e32 v39, v39, v43
	v_fma_f16 v42, v37, s12, -v41
	v_mul_f16_e32 v43, 0xba62, v29
	v_fma_f16 v41, v37, s12, v41
	v_add_f16_e32 v40, v40, v44
	v_fma_f16 v44, v38, s12, v43
	v_add_f16_e32 v41, v41, v45
	v_fma_f16 v43, v38, s12, -v43
	v_mul_f16_e32 v45, 0x31e1, v30
	v_add_f16_e32 v42, v42, v46
	v_add_f16_e32 v43, v43, v47
	v_fma_f16 v46, v37, s14, -v45
	v_mul_f16_e32 v47, 0x31e1, v29
	v_fma_f16 v45, v37, s14, v45
	v_add_f16_e32 v44, v44, v48
	;; [unrolled: 10-line block ×4, first 2 shown]
	v_fma_f16 v57, v38, s10, v55
	v_add_f16_e32 v52, v52, v56
	v_fma_f16 v55, v38, s10, -v55
	v_mul_f16_e32 v56, 0xb5c8, v30
	v_add_f16_e32 v55, v55, v58
	v_fma_f16 v58, v37, s9, -v56
	v_fma_f16 v56, v37, s9, v56
	v_add_f16_e32 v54, v54, v59
	v_mul_f16_e32 v59, 0xb5c8, v29
	v_add_f16_e32 v56, v56, v60
	v_mul_f16_e32 v60, 0xbbf7, v30
	v_add_f16_e32 v57, v57, v61
	v_add_f16_e32 v58, v58, v62
	v_fma_f16 v61, v38, s9, v59
	v_fma_f16 v59, v38, s9, -v59
	v_fma_f16 v62, v37, s5, -v60
	v_fma_f16 v60, v37, s5, v60
	v_mul_f16_e32 v30, 0xb836, v30
	v_add_f16_e32 v59, v59, v63
	v_mul_f16_e32 v63, 0xbbf7, v29
	v_add_f16_e32 v60, v60, v64
	v_fma_f16 v64, v37, s13, -v30
	v_mul_f16_e32 v29, 0xb836, v29
	v_fma_f16 v30, v37, s13, v30
	v_add_f16_e32 v62, v62, v66
	v_fma_f16 v66, v38, s13, v29
	v_add_f16_e32 v30, v30, v36
	v_fma_f16 v29, v38, s13, -v29
	v_add_f16_e32 v36, v28, v32
	v_sub_f16_e32 v28, v28, v32
	v_add_f16_e32 v29, v29, v35
	v_add_f16_e32 v35, v27, v31
	v_sub_f16_e32 v27, v27, v31
	v_mul_f16_e32 v31, 0xbbf7, v28
	v_fma_f16 v32, v35, s5, -v31
	v_add_f16_e32 v32, v32, v34
	v_mul_f16_e32 v34, 0xbbf7, v27
	v_fma_f16 v31, v35, s5, v31
	v_fma_f16 v37, v36, s5, v34
	v_add_f16_e32 v31, v31, v33
	v_fma_f16 v33, v36, s5, -v34
	v_mul_f16_e32 v34, 0xb1e1, v28
	v_add_f16_e32 v61, v61, v65
	v_fma_f16 v65, v38, s5, v63
	v_fma_f16 v63, v38, s5, -v63
	v_fma_f16 v38, v35, s14, -v34
	v_fma_f16 v34, v35, s14, v34
	v_add_f16_e32 v33, v33, v39
	v_mul_f16_e32 v39, 0xb1e1, v27
	v_add_f16_e32 v34, v34, v41
	v_mul_f16_e32 v41, 0x3bb2, v28
	v_add_f16_e32 v37, v37, v40
	v_add_f16_e32 v38, v38, v42
	v_fma_f16 v40, v36, s14, v39
	v_fma_f16 v39, v36, s14, -v39
	v_fma_f16 v42, v35, s11, -v41
	v_fma_f16 v41, v35, s11, v41
	v_add_f16_e32 v39, v39, v43
	v_mul_f16_e32 v43, 0x3bb2, v27
	v_add_f16_e32 v41, v41, v45
	v_mul_f16_e32 v45, 0x35c8, v28
	v_add_f16_e32 v40, v40, v44
	;; [unrolled: 10-line block ×5, first 2 shown]
	v_add_f16_e32 v54, v54, v58
	v_fma_f16 v57, v36, s13, v55
	v_fma_f16 v55, v36, s13, -v55
	v_fma_f16 v58, v35, s12, -v56
	v_fma_f16 v56, v35, s12, v56
	v_mul_f16_e32 v28, 0x3964, v28
	v_add_f16_e32 v55, v55, v59
	v_mul_f16_e32 v59, 0x3a62, v27
	v_add_f16_e32 v56, v56, v60
	v_fma_f16 v60, v35, s10, -v28
	v_mul_f16_e32 v27, 0x3964, v27
	v_fma_f16 v28, v35, s10, v28
	v_add_f16_e32 v58, v58, v62
	v_fma_f16 v62, v36, s10, v27
	v_add_f16_e32 v28, v28, v30
	v_fma_f16 v27, v36, s10, -v27
	v_add_f16_e32 v30, v13, v24
	v_sub_f16_e32 v13, v13, v24
	v_add_f16_e32 v27, v27, v29
	v_add_f16_e32 v29, v12, v23
	v_sub_f16_e32 v12, v12, v23
	v_mul_f16_e32 v23, 0xbbb2, v13
	v_fma_f16 v24, v29, s11, -v23
	v_add_f16_e32 v24, v24, v32
	v_mul_f16_e32 v32, 0xbbb2, v12
	v_fma_f16 v23, v29, s11, v23
	v_fma_f16 v35, v30, s11, v32
	v_add_f16_e32 v23, v23, v31
	v_fma_f16 v31, v30, s11, -v32
	v_mul_f16_e32 v32, 0x3836, v13
	v_add_f16_e32 v57, v57, v61
	v_fma_f16 v61, v36, s12, v59
	v_fma_f16 v59, v36, s12, -v59
	v_add_f16_e32 v31, v31, v33
	v_fma_f16 v33, v29, s13, -v32
	v_mul_f16_e32 v36, 0x3836, v12
	v_fma_f16 v32, v29, s13, v32
	v_add_f16_e32 v35, v35, v37
	v_fma_f16 v37, v30, s13, v36
	v_add_f16_e32 v32, v32, v34
	v_fma_f16 v34, v30, s13, -v36
	v_mul_f16_e32 v36, 0x3964, v13
	v_add_f16_e32 v33, v33, v38
	v_fma_f16 v38, v29, s10, -v36
	v_fma_f16 v36, v29, s10, v36
	v_add_f16_e32 v34, v34, v39
	v_mul_f16_e32 v39, 0x3964, v12
	v_add_f16_e32 v36, v36, v41
	v_mul_f16_e32 v41, 0xbb29, v13
	v_add_f16_e32 v37, v37, v40
	v_add_f16_e32 v38, v38, v42
	v_fma_f16 v40, v30, s10, v39
	v_fma_f16 v39, v30, s10, -v39
	v_fma_f16 v42, v29, s8, -v41
	v_fma_f16 v41, v29, s8, v41
	v_add_f16_e32 v39, v39, v43
	v_mul_f16_e32 v43, 0xbb29, v12
	v_add_f16_e32 v41, v41, v45
	v_mul_f16_e32 v45, 0xb1e1, v13
	v_add_f16_e32 v40, v40, v44
	v_add_f16_e32 v42, v42, v46
	v_fma_f16 v44, v30, s8, v43
	v_fma_f16 v43, v30, s8, -v43
	;; [unrolled: 10-line block ×4, first 2 shown]
	v_fma_f16 v54, v29, s9, -v52
	v_fma_f16 v52, v29, s9, v52
	v_mul_f16_e32 v13, 0xba62, v13
	v_add_f16_e32 v51, v51, v55
	v_mul_f16_e32 v55, 0xb5c8, v12
	v_add_f16_e32 v52, v52, v56
	v_fma_f16 v56, v29, s12, -v13
	v_mul_f16_e32 v12, 0xba62, v12
	v_fma_f16 v13, v29, s12, v13
	v_add_f16_e32 v54, v54, v58
	v_fma_f16 v58, v30, s12, v12
	v_add_f16_e32 v13, v13, v28
	v_fma_f16 v12, v30, s12, -v12
	v_add_f16_e32 v28, v9, v11
	v_sub_f16_e32 v9, v9, v11
	v_add_f16_e32 v12, v12, v27
	v_add_f16_e32 v27, v8, v10
	v_sub_f16_e32 v8, v8, v10
	v_mul_f16_e32 v10, 0xba62, v9
	v_fma_f16 v11, v27, s12, -v10
	v_add_f16_e32 v11, v11, v24
	v_mul_f16_e32 v24, 0xba62, v8
	v_fma_f16 v10, v27, s12, v10
	v_fma_f16 v29, v28, s12, v24
	v_add_f16_e32 v10, v10, v23
	v_fma_f16 v23, v28, s12, -v24
	v_mul_f16_e32 v24, 0x3bb2, v9
	v_add_f16_e32 v53, v53, v57
	v_fma_f16 v57, v30, s9, v55
	v_fma_f16 v55, v30, s9, -v55
	v_add_f16_e32 v23, v23, v31
	v_fma_f16 v30, v27, s11, -v24
	v_mul_f16_e32 v31, 0x3bb2, v8
	v_fma_f16 v24, v27, s11, v24
	v_add_f16_e32 v30, v30, v33
	v_fma_f16 v33, v28, s11, v31
	v_add_f16_e32 v24, v24, v32
	v_fma_f16 v31, v28, s11, -v31
	v_mul_f16_e32 v32, 0xb5c8, v9
	v_add_f16_e32 v31, v31, v34
	v_fma_f16 v34, v27, s9, -v32
	v_fma_f16 v32, v27, s9, v32
	v_add_f16_e32 v29, v29, v35
	v_mul_f16_e32 v35, 0xb5c8, v8
	v_add_f16_e32 v32, v32, v36
	v_mul_f16_e32 v36, 0xb836, v9
	v_add_f16_e32 v33, v33, v37
	v_add_f16_e32 v34, v34, v38
	v_fma_f16 v37, v28, s9, v35
	v_fma_f16 v35, v28, s9, -v35
	v_fma_f16 v38, v27, s13, -v36
	v_fma_f16 v36, v27, s13, v36
	v_add_f16_e32 v35, v35, v39
	v_mul_f16_e32 v39, 0xb836, v8
	v_add_f16_e32 v36, v36, v41
	v_mul_f16_e32 v41, 0x3bf7, v9
	v_add_f16_e32 v37, v37, v40
	v_add_f16_e32 v38, v38, v42
	v_fma_f16 v40, v28, s13, v39
	v_fma_f16 v39, v28, s13, -v39
	;; [unrolled: 10-line block ×4, first 2 shown]
	v_fma_f16 v50, v27, s14, -v49
	v_fma_f16 v49, v27, s14, v49
	v_mul_f16_e32 v9, 0x3b29, v9
	v_add_f16_e32 v47, v47, v51
	v_mul_f16_e32 v51, 0xb1e1, v8
	v_add_f16_e32 v49, v49, v52
	v_fma_f16 v52, v27, s8, -v9
	v_mul_f16_e32 v8, 0x3b29, v8
	v_fma_f16 v9, v27, s8, v9
	v_add_f16_e32 v50, v50, v54
	v_fma_f16 v54, v28, s8, v8
	v_add_f16_e32 v9, v9, v13
	v_fma_f16 v8, v28, s8, -v8
	v_add_f16_e32 v13, v5, v7
	v_sub_f16_e32 v5, v5, v7
	v_add_f16_e32 v8, v8, v12
	v_add_f16_e32 v12, v4, v6
	v_sub_f16_e32 v4, v4, v6
	v_mul_f16_e32 v6, 0xb836, v5
	v_fma_f16 v7, v12, s13, -v6
	v_add_f16_e32 v7, v7, v11
	v_mul_f16_e32 v11, 0xb836, v4
	v_fma_f16 v6, v12, s13, v6
	v_fma_f16 v27, v13, s13, v11
	v_add_f16_e32 v6, v6, v10
	v_fma_f16 v10, v13, s13, -v11
	v_mul_f16_e32 v11, 0x3b29, v5
	v_add_f16_e32 v48, v48, v53
	v_fma_f16 v53, v28, s14, v51
	v_fma_f16 v51, v28, s14, -v51
	v_add_f16_e32 v28, v27, v29
	v_add_f16_e32 v10, v10, v23
	v_fma_f16 v23, v12, s8, -v11
	v_mul_f16_e32 v27, 0x3b29, v4
	v_fma_f16 v11, v12, s8, v11
	v_fma_f16 v29, v13, s8, v27
	v_add_f16_e32 v11, v11, v24
	v_fma_f16 v24, v13, s8, -v27
	v_mul_f16_e32 v27, 0xbbf7, v5
	v_add_f16_e32 v23, v23, v30
	v_add_f16_e32 v24, v24, v31
	v_fma_f16 v30, v12, s5, -v27
	v_mul_f16_e32 v31, 0xbbf7, v4
	v_fma_f16 v27, v12, s5, v27
	v_add_f16_e32 v68, v68, v72
	v_add_f16_e32 v63, v63, v67
	;; [unrolled: 1-line block ×3, first 2 shown]
	v_fma_f16 v27, v13, s5, -v31
	v_add_f16_e32 v69, v69, v71
	v_add_f16_e32 v64, v64, v68
	;; [unrolled: 1-line block ×4, first 2 shown]
	v_fma_f16 v33, v13, s5, v31
	v_add_f16_e32 v31, v27, v35
	v_mul_f16_e32 v27, 0x3a62, v5
	v_add_f16_e32 v65, v65, v69
	v_add_f16_e32 v60, v60, v64
	;; [unrolled: 1-line block ×4, first 2 shown]
	v_fma_f16 v34, v12, s12, -v27
	v_add_f16_e32 v70, v70, v73
	v_add_f16_e32 v61, v61, v65
	;; [unrolled: 1-line block ×5, first 2 shown]
	v_mul_f16_e32 v34, 0x3a62, v4
	v_fma_f16 v27, v12, s12, v27
	v_add_f16_e32 v66, v66, v70
	v_add_f16_e32 v57, v57, v61
	;; [unrolled: 1-line block ×4, first 2 shown]
	v_fma_f16 v27, v13, s12, -v34
	v_add_f16_e32 v62, v62, v66
	v_add_f16_e32 v53, v53, v57
	;; [unrolled: 1-line block ×3, first 2 shown]
	v_mul_f16_e32 v27, 0xb5c8, v5
	v_add_f16_e32 v58, v58, v62
	v_fma_f16 v35, v13, s12, v34
	v_fma_f16 v34, v12, s9, -v27
	v_add_f16_e32 v54, v54, v58
	v_add_f16_e32 v58, v34, v42
	v_mul_f16_e32 v34, 0xb5c8, v4
	v_fma_f16 v27, v12, s9, v27
	v_add_f16_e32 v59, v27, v41
	v_fma_f16 v27, v13, s9, -v34
	v_add_f16_e32 v60, v27, v43
	v_mul_f16_e32 v27, 0xb1e1, v5
	v_add_f16_e32 v40, v35, v40
	v_fma_f16 v35, v13, s9, v34
	v_fma_f16 v34, v12, s14, -v27
	v_add_f16_e32 v46, v34, v46
	v_mul_f16_e32 v34, 0xb1e1, v4
	v_fma_f16 v27, v12, s14, v27
	v_add_f16_e32 v45, v27, v45
	v_fma_f16 v27, v13, s14, -v34
	v_add_f16_e32 v47, v27, v47
	v_mul_f16_e32 v27, 0x3964, v5
	v_add_f16_e32 v44, v35, v44
	v_fma_f16 v35, v13, s14, v34
	v_fma_f16 v34, v12, s10, -v27
	v_add_f16_e32 v50, v34, v50
	v_mul_f16_e32 v34, 0x3964, v4
	v_fma_f16 v27, v12, s10, v27
	v_add_f16_e32 v49, v27, v49
	v_fma_f16 v27, v13, s10, -v34
	v_mul_f16_e32 v5, 0xbbb2, v5
	v_sub_f16_e32 v63, v1, v3
	v_add_f16_e32 v51, v27, v51
	v_fma_f16 v27, v12, s11, -v5
	v_mul_f16_e32 v4, 0xbbb2, v4
	v_add_f16_e32 v61, v0, v2
	v_sub_f16_e32 v62, v0, v2
	v_mul_f16_e32 v0, 0xb1e1, v63
	v_add_f16_e32 v52, v27, v52
	v_fma_f16 v27, v13, s11, v4
	v_add_f16_e32 v43, v1, v3
	v_fma_f16 v1, v61, s14, -v0
	v_add_f16_e32 v54, v27, v54
	v_add_f16_e32 v27, v1, v7
	v_mul_f16_e32 v1, 0xb1e1, v62
	v_fma_f16 v2, v43, s14, v1
	v_add_f16_e32 v48, v35, v48
	v_fma_f16 v35, v13, s10, v34
	v_add_f16_e32 v34, v2, v28
	v_mul_f16_e32 v2, 0x35c8, v63
	v_fma_f16 v3, v61, s9, -v2
	v_add_f16_e32 v53, v35, v53
	v_fma_f16 v4, v13, s11, -v4
	v_add_f16_e32 v35, v3, v23
	v_mul_f16_e32 v3, 0x35c8, v62
	v_add_f16_e32 v42, v4, v8
	v_fma_f16 v4, v43, s9, v3
	v_fma_f16 v5, v12, s11, v5
	v_add_f16_e32 v36, v4, v29
	v_mul_f16_e32 v4, 0xb836, v63
	v_add_f16_e32 v41, v5, v9
	v_fma_f16 v5, v61, s13, -v4
	v_add_f16_e32 v33, v33, v37
	v_fma_f16 v0, v61, s14, v0
	v_add_f16_e32 v37, v5, v30
	v_mul_f16_e32 v5, 0xb836, v62
	v_add_f16_e32 v0, v0, v6
	v_fma_f16 v6, v43, s13, v5
	v_add_f16_e32 v38, v6, v33
	v_mul_f16_e32 v6, 0x3964, v63
	v_fma_f16 v7, v61, s10, -v6
	v_add_f16_e32 v39, v7, v55
	v_mul_f16_e32 v7, 0x3964, v62
	v_fma_f16 v8, v43, s10, v7
	v_add_f16_e32 v40, v8, v40
	v_mul_f16_e32 v8, 0xba62, v63
	v_fma_f16 v4, v61, s13, v4
	v_fma_f16 v9, v61, s12, -v8
	v_fma_f16 v1, v43, s14, -v1
	v_add_f16_e32 v4, v4, v32
	v_add_f16_e32 v32, v9, v58
	v_mul_f16_e32 v9, 0xba62, v62
	v_add_f16_e32 v1, v1, v10
	v_fma_f16 v10, v43, s12, v9
	v_fma_f16 v2, v61, s9, v2
	v_add_f16_e32 v33, v10, v44
	v_mul_f16_e32 v10, 0x3b29, v63
	v_add_f16_e32 v2, v2, v11
	v_fma_f16 v11, v61, s8, -v10
	v_add_f16_e32 v30, v11, v46
	v_mul_f16_e32 v11, 0x3b29, v62
	v_fma_f16 v5, v43, s13, -v5
	v_fma_f16 v12, v43, s8, v11
	v_add_f16_e32 v5, v5, v31
	v_add_f16_e32 v31, v12, v48
	v_mul_f16_e32 v12, 0xbbb2, v63
	v_fma_f16 v13, v61, s11, -v12
	v_fma_f16 v10, v61, s8, v10
	v_add_f16_e32 v28, v13, v50
	v_mul_f16_e32 v13, 0xbbb2, v62
	v_fma_f16 v3, v43, s9, -v3
	v_add_f16_e32 v10, v10, v45
	v_fma_f16 v23, v43, s11, v13
	v_mul_f16_e32 v45, 0x3bf7, v63
	v_mul_f16_e32 v44, 0x3bf7, v62
	v_add_f16_e32 v3, v3, v24
	v_fma_f16 v7, v43, s10, -v7
	v_fma_f16 v9, v43, s12, -v9
	;; [unrolled: 1-line block ×3, first 2 shown]
	v_add_f16_e32 v29, v23, v53
	v_fma_f16 v13, v43, s11, -v13
	v_fma_f16 v23, v61, s5, -v45
	v_fma_f16 v24, v43, s5, v44
	v_fma_f16 v45, v61, s5, v45
	v_fma_f16 v43, v43, s5, -v44
	v_fma_f16 v12, v61, s11, v12
	v_add_f16_e32 v41, v45, v41
	v_add_f16_e32 v42, v43, v42
	v_and_b32_e32 v43, 63, v22
	v_lshrrev_b32_e32 v44, 4, v22
	v_lshrrev_b32_e32 v45, 10, v22
	v_add_u32_e32 v22, v22, v21
	v_add_f16_e32 v12, v12, v49
	v_add_u32_e32 v49, v22, v21
	v_add_f16_e32 v11, v11, v47
	v_lshrrev_b32_e32 v47, 4, v22
	v_lshrrev_b32_e32 v48, 10, v22
	;; [unrolled: 1-line block ×3, first 2 shown]
	v_and_b32_e32 v44, 0xfc, v44
	s_add_i32 s5, 0, 0x1f9c
	v_and_b32_e32 v45, 0xfc, v45
	v_and_b32_e32 v46, 63, v22
	;; [unrolled: 1-line block ×6, first 2 shown]
	v_lshl_add_u32 v43, v43, 2, 0
	v_add_u32_e32 v44, s5, v44
	v_add_u32_e32 v45, s5, v45
	v_lshl_add_u32 v46, v46, 2, 0
	v_add_u32_e32 v47, s5, v47
	v_add_u32_e32 v48, s5, v48
	v_lshl_add_u32 v22, v22, 2, 0
	v_add_u32_e32 v50, s5, v50
	v_add_f16_e32 v13, v13, v51
	ds_read_b32 v43, v43 offset:8092
	ds_read_b32 v44, v44 offset:256
	;; [unrolled: 1-line block ×8, first 2 shown]
	s_waitcnt lgkmcnt(7)
	v_lshrrev_b32_e32 v22, 16, v43
	v_add_f16_e32 v23, v23, v52
	s_waitcnt lgkmcnt(6)
	v_mul_f16_sdwa v52, v22, v44 dst_sel:DWORD dst_unused:UNUSED_PAD src0_sel:DWORD src1_sel:WORD_1
	v_fma_f16 v52, v43, v44, -v52
	v_mul_f16_sdwa v43, v43, v44 dst_sel:DWORD dst_unused:UNUSED_PAD src0_sel:DWORD src1_sel:WORD_1
	v_fma_f16 v22, v22, v44, v43
	s_waitcnt lgkmcnt(5)
	v_mul_f16_sdwa v44, v52, v45 dst_sel:DWORD dst_unused:UNUSED_PAD src0_sel:DWORD src1_sel:WORD_1
	v_mul_f16_sdwa v43, v22, v45 dst_sel:DWORD dst_unused:UNUSED_PAD src0_sel:DWORD src1_sel:WORD_1
	v_fma_f16 v44, v45, v22, v44
	v_fma_f16 v43, v45, v52, -v43
	v_mul_f16_e32 v22, v26, v44
	v_fma_f16 v22, v25, v43, -v22
	v_mul_f16_e32 v25, v25, v44
	v_fma_f16 v25, v26, v43, v25
	s_waitcnt lgkmcnt(4)
	v_lshrrev_b32_e32 v26, 16, v46
	s_waitcnt lgkmcnt(3)
	v_mul_f16_sdwa v44, v46, v47 dst_sel:DWORD dst_unused:UNUSED_PAD src0_sel:DWORD src1_sel:WORD_1
	v_mul_f16_sdwa v43, v26, v47 dst_sel:DWORD dst_unused:UNUSED_PAD src0_sel:DWORD src1_sel:WORD_1
	v_fma_f16 v26, v26, v47, v44
	v_fma_f16 v43, v46, v47, -v43
	s_waitcnt lgkmcnt(2)
	v_mul_f16_sdwa v44, v26, v48 dst_sel:DWORD dst_unused:UNUSED_PAD src0_sel:DWORD src1_sel:WORD_1
	v_fma_f16 v44, v48, v43, -v44
	v_mul_f16_sdwa v43, v43, v48 dst_sel:DWORD dst_unused:UNUSED_PAD src0_sel:DWORD src1_sel:WORD_1
	v_fma_f16 v43, v48, v26, v43
	v_mul_f16_e32 v26, v34, v43
	v_fma_f16 v26, v27, v44, -v26
	v_mul_f16_e32 v27, v27, v43
	v_fma_f16 v27, v34, v44, v27
	s_waitcnt lgkmcnt(1)
	v_lshrrev_b32_e32 v34, 16, v51
	v_add_u32_e32 v45, v49, v21
	s_waitcnt lgkmcnt(0)
	v_mul_f16_sdwa v43, v34, v50 dst_sel:DWORD dst_unused:UNUSED_PAD src0_sel:DWORD src1_sel:WORD_1
	v_mul_f16_sdwa v44, v51, v50 dst_sel:DWORD dst_unused:UNUSED_PAD src0_sel:DWORD src1_sel:WORD_1
	v_and_b32_e32 v46, 63, v45
	v_lshrrev_b32_e32 v47, 4, v45
	v_lshrrev_b32_e32 v48, 10, v45
	v_add_u32_e32 v45, v45, v21
	v_fma_f16 v43, v51, v50, -v43
	v_fma_f16 v34, v34, v50, v44
	v_lshrrev_b32_e32 v44, 10, v49
	v_and_b32_e32 v49, 63, v45
	v_lshrrev_b32_e32 v50, 4, v45
	v_lshrrev_b32_e32 v51, 10, v45
	v_add_u32_e32 v45, v45, v21
	v_and_b32_e32 v44, 0xfc, v44
	v_and_b32_e32 v47, 0xfc, v47
	;; [unrolled: 1-line block ×6, first 2 shown]
	v_add_u32_e32 v44, s5, v44
	v_lshl_add_u32 v46, v46, 2, 0
	v_add_u32_e32 v47, s5, v47
	v_add_u32_e32 v48, s5, v48
	v_lshl_add_u32 v49, v49, 2, 0
	v_add_u32_e32 v50, s5, v50
	v_add_u32_e32 v51, s5, v51
	v_lshl_add_u32 v52, v52, 2, 0
	ds_read_b32 v44, v44 offset:512
	ds_read_b32 v46, v46 offset:8092
	;; [unrolled: 1-line block ×8, first 2 shown]
	s_waitcnt lgkmcnt(7)
	v_mul_f16_sdwa v53, v34, v44 dst_sel:DWORD dst_unused:UNUSED_PAD src0_sel:DWORD src1_sel:WORD_1
	v_fma_f16 v53, v44, v43, -v53
	v_mul_f16_sdwa v43, v43, v44 dst_sel:DWORD dst_unused:UNUSED_PAD src0_sel:DWORD src1_sel:WORD_1
	v_fma_f16 v43, v44, v34, v43
	v_mul_f16_e32 v34, v36, v43
	v_fma_f16 v34, v35, v53, -v34
	v_mul_f16_e32 v35, v35, v43
	v_fma_f16 v35, v36, v53, v35
	s_waitcnt lgkmcnt(6)
	v_lshrrev_b32_e32 v36, 16, v46
	s_waitcnt lgkmcnt(5)
	v_mul_f16_sdwa v44, v46, v47 dst_sel:DWORD dst_unused:UNUSED_PAD src0_sel:DWORD src1_sel:WORD_1
	v_mul_f16_sdwa v43, v36, v47 dst_sel:DWORD dst_unused:UNUSED_PAD src0_sel:DWORD src1_sel:WORD_1
	v_fma_f16 v36, v36, v47, v44
	v_fma_f16 v43, v46, v47, -v43
	s_waitcnt lgkmcnt(4)
	v_mul_f16_sdwa v44, v36, v48 dst_sel:DWORD dst_unused:UNUSED_PAD src0_sel:DWORD src1_sel:WORD_1
	v_fma_f16 v44, v48, v43, -v44
	v_mul_f16_sdwa v43, v43, v48 dst_sel:DWORD dst_unused:UNUSED_PAD src0_sel:DWORD src1_sel:WORD_1
	v_fma_f16 v43, v48, v36, v43
	v_mul_f16_e32 v36, v38, v43
	v_fma_f16 v36, v37, v44, -v36
	v_mul_f16_e32 v37, v37, v43
	v_fma_f16 v37, v38, v44, v37
	s_waitcnt lgkmcnt(3)
	v_lshrrev_b32_e32 v38, 16, v49
	s_waitcnt lgkmcnt(2)
	v_mul_f16_sdwa v44, v49, v50 dst_sel:DWORD dst_unused:UNUSED_PAD src0_sel:DWORD src1_sel:WORD_1
	v_mul_f16_sdwa v43, v38, v50 dst_sel:DWORD dst_unused:UNUSED_PAD src0_sel:DWORD src1_sel:WORD_1
	v_fma_f16 v38, v38, v50, v44
	v_fma_f16 v43, v49, v50, -v43
	s_waitcnt lgkmcnt(1)
	v_mul_f16_sdwa v44, v38, v51 dst_sel:DWORD dst_unused:UNUSED_PAD src0_sel:DWORD src1_sel:WORD_1
	v_fma_f16 v44, v51, v43, -v44
	v_mul_f16_sdwa v43, v43, v51 dst_sel:DWORD dst_unused:UNUSED_PAD src0_sel:DWORD src1_sel:WORD_1
	v_fma_f16 v43, v51, v38, v43
	v_mul_f16_e32 v38, v40, v43
	v_fma_f16 v38, v39, v44, -v38
	v_mul_f16_e32 v39, v39, v43
	v_fma_f16 v39, v40, v44, v39
	v_lshrrev_b32_e32 v43, 4, v45
	v_lshrrev_b32_e32 v44, 10, v45
	v_add_u32_e32 v45, v45, v21
	v_and_b32_e32 v46, 63, v45
	v_lshrrev_b32_e32 v47, 4, v45
	v_lshrrev_b32_e32 v48, 10, v45
	v_add_u32_e32 v45, v45, v21
	v_lshrrev_b32_e32 v50, 4, v45
	v_lshrrev_b32_e32 v51, 10, v45
	v_and_b32_e32 v43, 0xfc, v43
	v_and_b32_e32 v44, 0xfc, v44
	;; [unrolled: 1-line block ×7, first 2 shown]
	s_waitcnt lgkmcnt(0)
	v_lshrrev_b32_e32 v40, 16, v52
	v_add_u32_e32 v43, s5, v43
	v_add_u32_e32 v44, s5, v44
	v_lshl_add_u32 v46, v46, 2, 0
	v_add_u32_e32 v47, s5, v47
	v_add_u32_e32 v48, s5, v48
	v_lshl_add_u32 v49, v49, 2, 0
	v_add_u32_e32 v50, s5, v50
	v_add_u32_e32 v51, s5, v51
	ds_read_b32 v43, v43 offset:256
	ds_read_b32 v44, v44 offset:512
	;; [unrolled: 1-line block ×8, first 2 shown]
	s_waitcnt lgkmcnt(7)
	v_mul_f16_sdwa v53, v40, v43 dst_sel:DWORD dst_unused:UNUSED_PAD src0_sel:DWORD src1_sel:WORD_1
	v_fma_f16 v53, v52, v43, -v53
	v_mul_f16_sdwa v52, v52, v43 dst_sel:DWORD dst_unused:UNUSED_PAD src0_sel:DWORD src1_sel:WORD_1
	v_fma_f16 v40, v40, v43, v52
	s_waitcnt lgkmcnt(6)
	v_mul_f16_sdwa v43, v40, v44 dst_sel:DWORD dst_unused:UNUSED_PAD src0_sel:DWORD src1_sel:WORD_1
	v_mul_f16_sdwa v52, v53, v44 dst_sel:DWORD dst_unused:UNUSED_PAD src0_sel:DWORD src1_sel:WORD_1
	v_fma_f16 v43, v44, v53, -v43
	v_fma_f16 v44, v44, v40, v52
	v_mul_f16_e32 v40, v33, v44
	v_fma_f16 v40, v32, v43, -v40
	v_mul_f16_e32 v32, v32, v44
	v_fma_f16 v32, v33, v43, v32
	s_waitcnt lgkmcnt(5)
	v_lshrrev_b32_e32 v33, 16, v46
	s_waitcnt lgkmcnt(4)
	v_mul_f16_sdwa v44, v46, v47 dst_sel:DWORD dst_unused:UNUSED_PAD src0_sel:DWORD src1_sel:WORD_1
	v_mul_f16_sdwa v43, v33, v47 dst_sel:DWORD dst_unused:UNUSED_PAD src0_sel:DWORD src1_sel:WORD_1
	v_fma_f16 v33, v33, v47, v44
	v_fma_f16 v43, v46, v47, -v43
	s_waitcnt lgkmcnt(3)
	v_mul_f16_sdwa v44, v33, v48 dst_sel:DWORD dst_unused:UNUSED_PAD src0_sel:DWORD src1_sel:WORD_1
	v_fma_f16 v44, v48, v43, -v44
	v_mul_f16_sdwa v43, v43, v48 dst_sel:DWORD dst_unused:UNUSED_PAD src0_sel:DWORD src1_sel:WORD_1
	v_fma_f16 v43, v48, v33, v43
	v_mul_f16_e32 v33, v31, v43
	v_fma_f16 v33, v30, v44, -v33
	v_mul_f16_e32 v30, v30, v43
	v_fma_f16 v30, v31, v44, v30
	s_waitcnt lgkmcnt(2)
	v_lshrrev_b32_e32 v31, 16, v49
	s_waitcnt lgkmcnt(1)
	v_mul_f16_sdwa v44, v49, v50 dst_sel:DWORD dst_unused:UNUSED_PAD src0_sel:DWORD src1_sel:WORD_1
	v_mul_f16_sdwa v43, v31, v50 dst_sel:DWORD dst_unused:UNUSED_PAD src0_sel:DWORD src1_sel:WORD_1
	v_fma_f16 v31, v31, v50, v44
	v_fma_f16 v43, v49, v50, -v43
	s_waitcnt lgkmcnt(0)
	v_mul_f16_sdwa v44, v31, v51 dst_sel:DWORD dst_unused:UNUSED_PAD src0_sel:DWORD src1_sel:WORD_1
	v_fma_f16 v44, v51, v43, -v44
	v_mul_f16_sdwa v43, v43, v51 dst_sel:DWORD dst_unused:UNUSED_PAD src0_sel:DWORD src1_sel:WORD_1
	v_fma_f16 v43, v51, v31, v43
	v_mul_f16_e32 v31, v29, v43
	v_fma_f16 v31, v28, v44, -v31
	v_mul_f16_e32 v28, v28, v43
	v_fma_f16 v28, v29, v44, v28
	v_add_u32_e32 v29, v45, v21
	v_and_b32_e32 v43, 63, v29
	v_lshrrev_b32_e32 v44, 4, v29
	v_lshrrev_b32_e32 v45, 10, v29
	v_add_u32_e32 v29, v29, v21
	v_add_u32_e32 v49, v29, v21
	v_lshrrev_b32_e32 v47, 4, v29
	v_lshrrev_b32_e32 v48, 10, v29
	;; [unrolled: 1-line block ×3, first 2 shown]
	v_and_b32_e32 v44, 0xfc, v44
	v_and_b32_e32 v45, 0xfc, v45
	;; [unrolled: 1-line block ×7, first 2 shown]
	v_lshl_add_u32 v43, v43, 2, 0
	v_add_u32_e32 v44, s5, v44
	v_add_u32_e32 v45, s5, v45
	v_lshl_add_u32 v46, v46, 2, 0
	v_add_u32_e32 v47, s5, v47
	v_add_u32_e32 v48, s5, v48
	v_lshl_add_u32 v29, v29, 2, 0
	v_add_u32_e32 v50, s5, v50
	ds_read_b32 v43, v43 offset:8092
	ds_read_b32 v44, v44 offset:256
	;; [unrolled: 1-line block ×8, first 2 shown]
	s_waitcnt lgkmcnt(7)
	v_lshrrev_b32_e32 v29, 16, v43
	s_waitcnt lgkmcnt(6)
	v_mul_f16_sdwa v52, v29, v44 dst_sel:DWORD dst_unused:UNUSED_PAD src0_sel:DWORD src1_sel:WORD_1
	v_fma_f16 v52, v43, v44, -v52
	v_mul_f16_sdwa v43, v43, v44 dst_sel:DWORD dst_unused:UNUSED_PAD src0_sel:DWORD src1_sel:WORD_1
	v_fma_f16 v29, v29, v44, v43
	s_waitcnt lgkmcnt(5)
	v_mul_f16_sdwa v44, v52, v45 dst_sel:DWORD dst_unused:UNUSED_PAD src0_sel:DWORD src1_sel:WORD_1
	v_add_f16_e32 v24, v24, v54
	v_mul_f16_sdwa v43, v29, v45 dst_sel:DWORD dst_unused:UNUSED_PAD src0_sel:DWORD src1_sel:WORD_1
	v_fma_f16 v44, v45, v29, v44
	v_fma_f16 v43, v45, v52, -v43
	v_mul_f16_e32 v29, v24, v44
	v_fma_f16 v29, v23, v43, -v29
	v_mul_f16_e32 v23, v23, v44
	v_fma_f16 v23, v24, v43, v23
	s_waitcnt lgkmcnt(4)
	v_lshrrev_b32_e32 v24, 16, v46
	s_waitcnt lgkmcnt(3)
	v_mul_f16_sdwa v44, v46, v47 dst_sel:DWORD dst_unused:UNUSED_PAD src0_sel:DWORD src1_sel:WORD_1
	v_mul_f16_sdwa v43, v24, v47 dst_sel:DWORD dst_unused:UNUSED_PAD src0_sel:DWORD src1_sel:WORD_1
	v_fma_f16 v24, v24, v47, v44
	v_fma_f16 v43, v46, v47, -v43
	s_waitcnt lgkmcnt(2)
	v_mul_f16_sdwa v44, v24, v48 dst_sel:DWORD dst_unused:UNUSED_PAD src0_sel:DWORD src1_sel:WORD_1
	v_fma_f16 v44, v48, v43, -v44
	v_mul_f16_sdwa v43, v43, v48 dst_sel:DWORD dst_unused:UNUSED_PAD src0_sel:DWORD src1_sel:WORD_1
	v_fma_f16 v43, v48, v24, v43
	v_mul_f16_e32 v24, v42, v43
	v_fma_f16 v24, v41, v44, -v24
	v_mul_f16_e32 v41, v41, v43
	v_fma_f16 v41, v42, v44, v41
	s_waitcnt lgkmcnt(1)
	v_lshrrev_b32_e32 v42, 16, v51
	v_add_u32_e32 v45, v49, v21
	s_waitcnt lgkmcnt(0)
	v_mul_f16_sdwa v43, v42, v50 dst_sel:DWORD dst_unused:UNUSED_PAD src0_sel:DWORD src1_sel:WORD_1
	v_mul_f16_sdwa v44, v51, v50 dst_sel:DWORD dst_unused:UNUSED_PAD src0_sel:DWORD src1_sel:WORD_1
	v_and_b32_e32 v46, 63, v45
	v_lshrrev_b32_e32 v47, 4, v45
	v_lshrrev_b32_e32 v48, 10, v45
	v_add_u32_e32 v45, v45, v21
	v_fma_f16 v43, v51, v50, -v43
	v_fma_f16 v42, v42, v50, v44
	v_lshrrev_b32_e32 v44, 10, v49
	v_and_b32_e32 v49, 63, v45
	v_lshrrev_b32_e32 v50, 4, v45
	v_lshrrev_b32_e32 v51, 10, v45
	v_add_u32_e32 v45, v45, v21
	v_and_b32_e32 v44, 0xfc, v44
	v_and_b32_e32 v47, 0xfc, v47
	v_and_b32_e32 v48, 0xfc, v48
	v_and_b32_e32 v50, 0xfc, v50
	v_and_b32_e32 v51, 0xfc, v51
	v_and_b32_e32 v52, 63, v45
	v_add_u32_e32 v44, s5, v44
	v_lshl_add_u32 v46, v46, 2, 0
	v_add_u32_e32 v47, s5, v47
	v_add_u32_e32 v48, s5, v48
	v_lshl_add_u32 v49, v49, 2, 0
	v_add_u32_e32 v50, s5, v50
	v_add_u32_e32 v51, s5, v51
	v_lshl_add_u32 v52, v52, 2, 0
	ds_read_b32 v44, v44 offset:512
	ds_read_b32 v46, v46 offset:8092
	;; [unrolled: 1-line block ×8, first 2 shown]
	s_waitcnt lgkmcnt(7)
	v_mul_f16_sdwa v53, v42, v44 dst_sel:DWORD dst_unused:UNUSED_PAD src0_sel:DWORD src1_sel:WORD_1
	v_fma_f16 v53, v44, v43, -v53
	v_mul_f16_sdwa v43, v43, v44 dst_sel:DWORD dst_unused:UNUSED_PAD src0_sel:DWORD src1_sel:WORD_1
	v_fma_f16 v43, v44, v42, v43
	v_mul_f16_e32 v42, v13, v43
	v_fma_f16 v42, v12, v53, -v42
	v_mul_f16_e32 v12, v12, v43
	v_fma_f16 v12, v13, v53, v12
	s_waitcnt lgkmcnt(6)
	v_lshrrev_b32_e32 v13, 16, v46
	s_waitcnt lgkmcnt(5)
	v_mul_f16_sdwa v44, v46, v47 dst_sel:DWORD dst_unused:UNUSED_PAD src0_sel:DWORD src1_sel:WORD_1
	v_mul_f16_sdwa v43, v13, v47 dst_sel:DWORD dst_unused:UNUSED_PAD src0_sel:DWORD src1_sel:WORD_1
	v_fma_f16 v13, v13, v47, v44
	v_fma_f16 v43, v46, v47, -v43
	s_waitcnt lgkmcnt(4)
	v_mul_f16_sdwa v44, v13, v48 dst_sel:DWORD dst_unused:UNUSED_PAD src0_sel:DWORD src1_sel:WORD_1
	v_fma_f16 v44, v48, v43, -v44
	v_mul_f16_sdwa v43, v43, v48 dst_sel:DWORD dst_unused:UNUSED_PAD src0_sel:DWORD src1_sel:WORD_1
	v_fma_f16 v43, v48, v13, v43
	v_mul_f16_e32 v13, v11, v43
	v_fma_f16 v13, v10, v44, -v13
	v_mul_f16_e32 v10, v10, v43
	v_fma_f16 v10, v11, v44, v10
	s_waitcnt lgkmcnt(3)
	v_lshrrev_b32_e32 v11, 16, v49
	s_waitcnt lgkmcnt(2)
	v_mul_f16_sdwa v44, v49, v50 dst_sel:DWORD dst_unused:UNUSED_PAD src0_sel:DWORD src1_sel:WORD_1
	v_mul_f16_sdwa v43, v11, v50 dst_sel:DWORD dst_unused:UNUSED_PAD src0_sel:DWORD src1_sel:WORD_1
	v_fma_f16 v11, v11, v50, v44
	v_fma_f16 v43, v49, v50, -v43
	s_waitcnt lgkmcnt(1)
	v_mul_f16_sdwa v44, v11, v51 dst_sel:DWORD dst_unused:UNUSED_PAD src0_sel:DWORD src1_sel:WORD_1
	v_fma_f16 v44, v51, v43, -v44
	v_mul_f16_sdwa v43, v43, v51 dst_sel:DWORD dst_unused:UNUSED_PAD src0_sel:DWORD src1_sel:WORD_1
	v_fma_f16 v8, v61, s12, v8
	v_add_f16_e32 v9, v9, v60
	v_fma_f16 v43, v51, v11, v43
	v_add_f16_e32 v8, v8, v59
	v_mul_f16_e32 v11, v9, v43
	v_fma_f16 v11, v8, v44, -v11
	v_mul_f16_e32 v8, v8, v43
	v_fma_f16 v8, v9, v44, v8
	v_lshrrev_b32_e32 v43, 4, v45
	v_lshrrev_b32_e32 v44, 10, v45
	v_add_u32_e32 v45, v45, v21
	v_and_b32_e32 v46, 63, v45
	v_lshrrev_b32_e32 v47, 4, v45
	v_lshrrev_b32_e32 v48, 10, v45
	v_add_u32_e32 v45, v45, v21
	v_lshrrev_b32_e32 v50, 4, v45
	v_lshrrev_b32_e32 v51, 10, v45
	v_and_b32_e32 v43, 0xfc, v43
	v_and_b32_e32 v44, 0xfc, v44
	;; [unrolled: 1-line block ×7, first 2 shown]
	s_waitcnt lgkmcnt(0)
	v_lshrrev_b32_e32 v9, 16, v52
	v_add_u32_e32 v43, s5, v43
	v_add_u32_e32 v44, s5, v44
	v_lshl_add_u32 v46, v46, 2, 0
	v_add_u32_e32 v47, s5, v47
	v_add_u32_e32 v48, s5, v48
	v_lshl_add_u32 v49, v49, 2, 0
	v_add_u32_e32 v50, s5, v50
	v_add_u32_e32 v51, s5, v51
	ds_read_b32 v43, v43 offset:256
	ds_read_b32 v44, v44 offset:512
	;; [unrolled: 1-line block ×8, first 2 shown]
	s_waitcnt lgkmcnt(7)
	v_mul_f16_sdwa v53, v9, v43 dst_sel:DWORD dst_unused:UNUSED_PAD src0_sel:DWORD src1_sel:WORD_1
	v_fma_f16 v53, v52, v43, -v53
	v_mul_f16_sdwa v52, v52, v43 dst_sel:DWORD dst_unused:UNUSED_PAD src0_sel:DWORD src1_sel:WORD_1
	v_fma_f16 v9, v9, v43, v52
	s_waitcnt lgkmcnt(6)
	v_mul_f16_sdwa v52, v53, v44 dst_sel:DWORD dst_unused:UNUSED_PAD src0_sel:DWORD src1_sel:WORD_1
	v_fma_f16 v6, v61, s10, v6
	v_add_f16_e32 v7, v7, v57
	v_mul_f16_sdwa v43, v9, v44 dst_sel:DWORD dst_unused:UNUSED_PAD src0_sel:DWORD src1_sel:WORD_1
	v_fma_f16 v9, v44, v9, v52
	v_add_f16_e32 v6, v6, v56
	v_fma_f16 v43, v44, v53, -v43
	v_mul_f16_e32 v44, v7, v9
	v_fma_f16 v44, v6, v43, -v44
	v_mul_f16_e32 v6, v6, v9
	v_fma_f16 v6, v7, v43, v6
	s_waitcnt lgkmcnt(5)
	v_lshrrev_b32_e32 v7, 16, v46
	s_waitcnt lgkmcnt(4)
	v_mul_f16_sdwa v43, v46, v47 dst_sel:DWORD dst_unused:UNUSED_PAD src0_sel:DWORD src1_sel:WORD_1
	v_mul_f16_sdwa v9, v7, v47 dst_sel:DWORD dst_unused:UNUSED_PAD src0_sel:DWORD src1_sel:WORD_1
	v_fma_f16 v7, v7, v47, v43
	v_fma_f16 v9, v46, v47, -v9
	s_waitcnt lgkmcnt(3)
	v_mul_f16_sdwa v43, v7, v48 dst_sel:DWORD dst_unused:UNUSED_PAD src0_sel:DWORD src1_sel:WORD_1
	v_fma_f16 v43, v48, v9, -v43
	v_mul_f16_sdwa v9, v9, v48 dst_sel:DWORD dst_unused:UNUSED_PAD src0_sel:DWORD src1_sel:WORD_1
	v_fma_f16 v7, v48, v7, v9
	v_mul_f16_e32 v9, v5, v7
	v_fma_f16 v9, v4, v43, -v9
	v_mul_f16_e32 v4, v4, v7
	v_fma_f16 v4, v5, v43, v4
	s_waitcnt lgkmcnt(2)
	v_lshrrev_b32_e32 v5, 16, v49
	s_waitcnt lgkmcnt(1)
	v_mul_f16_sdwa v43, v49, v50 dst_sel:DWORD dst_unused:UNUSED_PAD src0_sel:DWORD src1_sel:WORD_1
	v_mul_f16_sdwa v7, v5, v50 dst_sel:DWORD dst_unused:UNUSED_PAD src0_sel:DWORD src1_sel:WORD_1
	v_fma_f16 v5, v5, v50, v43
	v_fma_f16 v7, v49, v50, -v7
	s_waitcnt lgkmcnt(0)
	v_mul_f16_sdwa v43, v5, v51 dst_sel:DWORD dst_unused:UNUSED_PAD src0_sel:DWORD src1_sel:WORD_1
	v_fma_f16 v43, v51, v7, -v43
	v_mul_f16_sdwa v7, v7, v51 dst_sel:DWORD dst_unused:UNUSED_PAD src0_sel:DWORD src1_sel:WORD_1
	v_fma_f16 v5, v51, v5, v7
	v_mul_f16_e32 v7, v3, v5
	v_fma_f16 v7, v2, v43, -v7
	v_mul_f16_e32 v2, v2, v5
	v_fma_f16 v2, v3, v43, v2
	v_add_u32_e32 v3, v45, v21
	v_lshrrev_b32_e32 v21, 4, v3
	v_and_b32_e32 v5, 63, v3
	v_and_b32_e32 v21, 0xfc, v21
	v_lshl_add_u32 v5, v5, 2, 0
	v_add_u32_e32 v21, s5, v21
	v_lshrrev_b32_e32 v3, 10, v3
	ds_read_b32 v5, v5 offset:8092
	ds_read_b32 v21, v21 offset:256
	v_and_b32_e32 v3, 0xfc, v3
	v_add_u32_e32 v3, s5, v3
	ds_read_b32 v3, v3 offset:512
	s_waitcnt lgkmcnt(2)
	v_lshrrev_b32_e32 v43, 16, v5
	s_waitcnt lgkmcnt(1)
	v_mul_f16_sdwa v45, v43, v21 dst_sel:DWORD dst_unused:UNUSED_PAD src0_sel:DWORD src1_sel:WORD_1
	v_fma_f16 v45, v5, v21, -v45
	v_mul_f16_sdwa v5, v5, v21 dst_sel:DWORD dst_unused:UNUSED_PAD src0_sel:DWORD src1_sel:WORD_1
	v_fma_f16 v5, v43, v21, v5
	s_waitcnt lgkmcnt(0)
	v_mul_f16_sdwa v21, v5, v3 dst_sel:DWORD dst_unused:UNUSED_PAD src0_sel:DWORD src1_sel:WORD_1
	v_mul_f16_sdwa v43, v45, v3 dst_sel:DWORD dst_unused:UNUSED_PAD src0_sel:DWORD src1_sel:WORD_1
	v_fma_f16 v21, v3, v45, -v21
	v_fma_f16 v3, v3, v5, v43
	v_mul_f16_e32 v5, v1, v3
	v_fma_f16 v5, v0, v21, -v5
	v_mul_f16_e32 v0, v0, v3
	v_fma_f16 v0, v1, v21, v0
	v_pack_b32_f16 v1, v22, v25
	v_pack_b32_f16 v3, v26, v27
	s_barrier
	ds_write2_b32 v20, v1, v3 offset1:17
	v_pack_b32_f16 v1, v34, v35
	v_pack_b32_f16 v3, v36, v37
	ds_write2_b32 v20, v1, v3 offset0:34 offset1:51
	v_pack_b32_f16 v1, v38, v39
	v_pack_b32_f16 v3, v40, v32
	ds_write2_b32 v20, v1, v3 offset0:68 offset1:85
	;; [unrolled: 3-line block ×6, first 2 shown]
	v_pack_b32_f16 v1, v9, v4
	v_pack_b32_f16 v2, v7, v2
	;; [unrolled: 1-line block ×3, first 2 shown]
	ds_write2_b32 v20, v1, v2 offset0:238 offset1:255
	ds_write_b32 v20, v0 offset:1088
	s_waitcnt lgkmcnt(0)
	s_barrier
	s_and_saveexec_b64 s[8:9], s[0:1]
	s_cbranch_execz .LBB0_19
; %bb.18:
	v_mad_u64_u32 v[0:1], s[0:1], s18, v18, 0
	v_mad_u64_u32 v[2:3], s[8:9], s16, v14, 0
	s_mul_i32 s5, s7, s4
	s_mul_hi_u32 s7, s6, s4
	v_mad_u64_u32 v[4:5], s[8:9], s19, v18, v[1:2]
	v_mov_b32_e32 v1, v3
	v_mad_u64_u32 v[5:6], s[8:9], s17, v14, v[1:2]
	s_movk_i32 s0, 0x484
	s_add_i32 s1, s7, s5
	v_mul_lo_u32 v6, v18, s0
	s_mul_i32 s0, s6, s4
	s_lshl_b64 s[0:1], s[0:1], 2
	s_add_u32 s4, s22, s0
	v_mov_b32_e32 v1, v4
	s_addc_u32 s5, s23, s1
	s_lshl_b64 s[0:1], s[2:3], 2
	s_add_u32 s0, s4, s0
	v_lshlrev_b64 v[0:1], 2, v[0:1]
	v_add3_u32 v9, 0, v6, v19
	s_addc_u32 s1, s5, s1
	v_mov_b32_e32 v3, v5
	ds_read2_b32 v[4:5], v9 offset1:17
	v_mov_b32_e32 v6, s1
	v_add_co_u32_e32 v10, vcc, s0, v0
	v_addc_co_u32_e32 v11, vcc, v6, v1, vcc
	v_lshlrev_b64 v[0:1], 2, v[2:3]
	v_mad_u64_u32 v[2:3], s[0:1], s16, v17, 0
	v_add_co_u32_e32 v0, vcc, v10, v0
	s_waitcnt lgkmcnt(0)
	v_mad_u64_u32 v[6:7], s[0:1], s17, v17, v[3:4]
	v_mad_u64_u32 v[7:8], s[0:1], s16, v16, 0
	v_addc_co_u32_e32 v1, vcc, v11, v1, vcc
	v_mov_b32_e32 v3, v6
	global_store_dword v[0:1], v4, off
	v_lshlrev_b64 v[0:1], 2, v[2:3]
	v_mov_b32_e32 v2, v8
	v_add_co_u32_e32 v0, vcc, v10, v0
	v_mad_u64_u32 v[2:3], s[0:1], s17, v16, v[2:3]
	v_addc_co_u32_e32 v1, vcc, v11, v1, vcc
	global_store_dword v[0:1], v5, off
	v_mad_u64_u32 v[4:5], s[0:1], s16, v15, 0
	v_mov_b32_e32 v8, v2
	ds_read2_b32 v[0:1], v9 offset0:34 offset1:51
	v_lshlrev_b64 v[2:3], 2, v[7:8]
	v_mad_u64_u32 v[5:6], s[0:1], s17, v15, v[5:6]
	v_add_u32_e32 v8, 0x44, v14
	v_mad_u64_u32 v[6:7], s[0:1], s16, v8, 0
	v_add_co_u32_e32 v2, vcc, v10, v2
	v_addc_co_u32_e32 v3, vcc, v11, v3, vcc
	s_waitcnt lgkmcnt(0)
	global_store_dword v[2:3], v0, off
	v_mov_b32_e32 v0, v7
	v_lshlrev_b64 v[2:3], 2, v[4:5]
	v_mad_u64_u32 v[4:5], s[0:1], s17, v8, v[0:1]
	v_add_co_u32_e32 v2, vcc, v10, v2
	v_addc_co_u32_e32 v3, vcc, v11, v3, vcc
	v_mov_b32_e32 v7, v4
	global_store_dword v[2:3], v1, off
	v_lshlrev_b64 v[2:3], 2, v[6:7]
	v_add_u32_e32 v6, 0x55, v14
	v_mad_u64_u32 v[4:5], s[0:1], s16, v6, 0
	ds_read2_b32 v[0:1], v9 offset0:68 offset1:85
	v_add_u32_e32 v8, 0x66, v14
	v_mad_u64_u32 v[5:6], s[0:1], s17, v6, v[5:6]
	v_mad_u64_u32 v[6:7], s[0:1], s16, v8, 0
	v_add_co_u32_e32 v2, vcc, v10, v2
	v_addc_co_u32_e32 v3, vcc, v11, v3, vcc
	s_waitcnt lgkmcnt(0)
	global_store_dword v[2:3], v0, off
	v_mov_b32_e32 v0, v7
	v_lshlrev_b64 v[2:3], 2, v[4:5]
	v_mad_u64_u32 v[4:5], s[0:1], s17, v8, v[0:1]
	v_add_co_u32_e32 v2, vcc, v10, v2
	v_addc_co_u32_e32 v3, vcc, v11, v3, vcc
	v_mov_b32_e32 v7, v4
	global_store_dword v[2:3], v1, off
	v_lshlrev_b64 v[2:3], 2, v[6:7]
	v_add_u32_e32 v6, 0x77, v14
	v_mad_u64_u32 v[4:5], s[0:1], s16, v6, 0
	ds_read2_b32 v[0:1], v9 offset0:102 offset1:119
	v_add_u32_e32 v8, 0x88, v14
	v_mad_u64_u32 v[5:6], s[0:1], s17, v6, v[5:6]
	;; [unrolled: 18-line block ×6, first 2 shown]
	v_mad_u64_u32 v[6:7], s[0:1], s16, v8, 0
	v_add_co_u32_e32 v2, vcc, v10, v2
	v_addc_co_u32_e32 v3, vcc, v11, v3, vcc
	s_waitcnt lgkmcnt(0)
	global_store_dword v[2:3], v0, off
	v_mov_b32_e32 v0, v7
	v_lshlrev_b64 v[2:3], 2, v[4:5]
	v_mad_u64_u32 v[4:5], s[0:1], s17, v8, v[0:1]
	v_add_co_u32_e32 v2, vcc, v10, v2
	v_addc_co_u32_e32 v3, vcc, v11, v3, vcc
	global_store_dword v[2:3], v1, off
	v_mov_b32_e32 v7, v4
	ds_read_b32 v2, v9 offset:1088
	v_lshlrev_b64 v[0:1], 2, v[6:7]
	v_add_co_u32_e32 v0, vcc, v10, v0
	v_addc_co_u32_e32 v1, vcc, v11, v1, vcc
	s_waitcnt lgkmcnt(0)
	global_store_dword v[0:1], v2, off
.LBB0_19:
	s_endpgm
	.section	.rodata,"a",@progbits
	.p2align	6, 0x0
	.amdhsa_kernel fft_rtc_fwd_len289_factors_17_17_wgs_119_tpt_17_half_op_CI_CI_sbcc_twdbase6_3step
		.amdhsa_group_segment_fixed_size 0
		.amdhsa_private_segment_fixed_size 0
		.amdhsa_kernarg_size 112
		.amdhsa_user_sgpr_count 6
		.amdhsa_user_sgpr_private_segment_buffer 1
		.amdhsa_user_sgpr_dispatch_ptr 0
		.amdhsa_user_sgpr_queue_ptr 0
		.amdhsa_user_sgpr_kernarg_segment_ptr 1
		.amdhsa_user_sgpr_dispatch_id 0
		.amdhsa_user_sgpr_flat_scratch_init 0
		.amdhsa_user_sgpr_private_segment_size 0
		.amdhsa_uses_dynamic_stack 0
		.amdhsa_system_sgpr_private_segment_wavefront_offset 0
		.amdhsa_system_sgpr_workgroup_id_x 1
		.amdhsa_system_sgpr_workgroup_id_y 0
		.amdhsa_system_sgpr_workgroup_id_z 0
		.amdhsa_system_sgpr_workgroup_info 0
		.amdhsa_system_vgpr_workitem_id 0
		.amdhsa_next_free_vgpr 76
		.amdhsa_next_free_sgpr 55
		.amdhsa_reserve_vcc 1
		.amdhsa_reserve_flat_scratch 0
		.amdhsa_float_round_mode_32 0
		.amdhsa_float_round_mode_16_64 0
		.amdhsa_float_denorm_mode_32 3
		.amdhsa_float_denorm_mode_16_64 3
		.amdhsa_dx10_clamp 1
		.amdhsa_ieee_mode 1
		.amdhsa_fp16_overflow 0
		.amdhsa_exception_fp_ieee_invalid_op 0
		.amdhsa_exception_fp_denorm_src 0
		.amdhsa_exception_fp_ieee_div_zero 0
		.amdhsa_exception_fp_ieee_overflow 0
		.amdhsa_exception_fp_ieee_underflow 0
		.amdhsa_exception_fp_ieee_inexact 0
		.amdhsa_exception_int_div_zero 0
	.end_amdhsa_kernel
	.text
.Lfunc_end0:
	.size	fft_rtc_fwd_len289_factors_17_17_wgs_119_tpt_17_half_op_CI_CI_sbcc_twdbase6_3step, .Lfunc_end0-fft_rtc_fwd_len289_factors_17_17_wgs_119_tpt_17_half_op_CI_CI_sbcc_twdbase6_3step
                                        ; -- End function
	.section	.AMDGPU.csdata,"",@progbits
; Kernel info:
; codeLenInByte = 17596
; NumSgprs: 59
; NumVgprs: 76
; ScratchSize: 0
; MemoryBound: 0
; FloatMode: 240
; IeeeMode: 1
; LDSByteSize: 0 bytes/workgroup (compile time only)
; SGPRBlocks: 7
; VGPRBlocks: 18
; NumSGPRsForWavesPerEU: 59
; NumVGPRsForWavesPerEU: 76
; Occupancy: 3
; WaveLimiterHint : 1
; COMPUTE_PGM_RSRC2:SCRATCH_EN: 0
; COMPUTE_PGM_RSRC2:USER_SGPR: 6
; COMPUTE_PGM_RSRC2:TRAP_HANDLER: 0
; COMPUTE_PGM_RSRC2:TGID_X_EN: 1
; COMPUTE_PGM_RSRC2:TGID_Y_EN: 0
; COMPUTE_PGM_RSRC2:TGID_Z_EN: 0
; COMPUTE_PGM_RSRC2:TIDIG_COMP_CNT: 0
	.type	__hip_cuid_d68458804de3a70,@object ; @__hip_cuid_d68458804de3a70
	.section	.bss,"aw",@nobits
	.globl	__hip_cuid_d68458804de3a70
__hip_cuid_d68458804de3a70:
	.byte	0                               ; 0x0
	.size	__hip_cuid_d68458804de3a70, 1

	.ident	"AMD clang version 19.0.0git (https://github.com/RadeonOpenCompute/llvm-project roc-6.4.0 25133 c7fe45cf4b819c5991fe208aaa96edf142730f1d)"
	.section	".note.GNU-stack","",@progbits
	.addrsig
	.addrsig_sym __hip_cuid_d68458804de3a70
	.amdgpu_metadata
---
amdhsa.kernels:
  - .args:
      - .actual_access:  read_only
        .address_space:  global
        .offset:         0
        .size:           8
        .value_kind:     global_buffer
      - .address_space:  global
        .offset:         8
        .size:           8
        .value_kind:     global_buffer
      - .offset:         16
        .size:           8
        .value_kind:     by_value
      - .actual_access:  read_only
        .address_space:  global
        .offset:         24
        .size:           8
        .value_kind:     global_buffer
      - .actual_access:  read_only
        .address_space:  global
        .offset:         32
        .size:           8
        .value_kind:     global_buffer
      - .actual_access:  read_only
        .address_space:  global
        .offset:         40
        .size:           8
        .value_kind:     global_buffer
      - .offset:         48
        .size:           8
        .value_kind:     by_value
      - .actual_access:  read_only
        .address_space:  global
        .offset:         56
        .size:           8
        .value_kind:     global_buffer
      - .actual_access:  read_only
        .address_space:  global
        .offset:         64
        .size:           8
        .value_kind:     global_buffer
      - .offset:         72
        .size:           4
        .value_kind:     by_value
      - .actual_access:  read_only
        .address_space:  global
        .offset:         80
        .size:           8
        .value_kind:     global_buffer
      - .actual_access:  read_only
        .address_space:  global
        .offset:         88
        .size:           8
        .value_kind:     global_buffer
      - .actual_access:  read_only
        .address_space:  global
        .offset:         96
        .size:           8
        .value_kind:     global_buffer
      - .actual_access:  write_only
        .address_space:  global
        .offset:         104
        .size:           8
        .value_kind:     global_buffer
    .group_segment_fixed_size: 0
    .kernarg_segment_align: 8
    .kernarg_segment_size: 112
    .language:       OpenCL C
    .language_version:
      - 2
      - 0
    .max_flat_workgroup_size: 119
    .name:           fft_rtc_fwd_len289_factors_17_17_wgs_119_tpt_17_half_op_CI_CI_sbcc_twdbase6_3step
    .private_segment_fixed_size: 0
    .sgpr_count:     59
    .sgpr_spill_count: 0
    .symbol:         fft_rtc_fwd_len289_factors_17_17_wgs_119_tpt_17_half_op_CI_CI_sbcc_twdbase6_3step.kd
    .uniform_work_group_size: 1
    .uses_dynamic_stack: false
    .vgpr_count:     76
    .vgpr_spill_count: 0
    .wavefront_size: 64
amdhsa.target:   amdgcn-amd-amdhsa--gfx906
amdhsa.version:
  - 1
  - 2
...

	.end_amdgpu_metadata
